;; amdgpu-corpus repo=ROCm/rocFFT kind=compiled arch=gfx1030 opt=O3
	.text
	.amdgcn_target "amdgcn-amd-amdhsa--gfx1030"
	.amdhsa_code_object_version 6
	.protected	bluestein_single_fwd_len595_dim1_half_op_CI_CI ; -- Begin function bluestein_single_fwd_len595_dim1_half_op_CI_CI
	.globl	bluestein_single_fwd_len595_dim1_half_op_CI_CI
	.p2align	8
	.type	bluestein_single_fwd_len595_dim1_half_op_CI_CI,@function
bluestein_single_fwd_len595_dim1_half_op_CI_CI: ; @bluestein_single_fwd_len595_dim1_half_op_CI_CI
; %bb.0:
	s_load_dwordx4 s[16:19], s[4:5], 0x28
	v_mul_u32_u24_e32 v1, 0xf10, v0
	s_mov_b64 s[22:23], s[2:3]
	s_mov_b64 s[20:21], s[0:1]
	s_add_u32 s20, s20, s7
	v_lshrrev_b32_e32 v1, 16, v1
	s_addc_u32 s21, s21, 0
	v_mad_u64_u32 v[164:165], null, s6, 3, v[1:2]
	v_mov_b32_e32 v165, 0
                                        ; kill: def $vgpr2 killed $sgpr0 killed $exec
	s_mov_b32 s0, exec_lo
	s_waitcnt lgkmcnt(0)
	v_cmpx_gt_u64_e64 s[16:17], v[164:165]
	s_cbranch_execz .LBB0_10
; %bb.1:
	s_clause 0x1
	s_load_dwordx4 s[8:11], s[4:5], 0x18
	s_load_dwordx4 s[0:3], s[4:5], 0x0
	v_mul_lo_u16 v1, v1, 17
                                        ; implicit-def: $vgpr93
                                        ; implicit-def: $vgpr75
                                        ; implicit-def: $vgpr207
                                        ; implicit-def: $vgpr206
                                        ; implicit-def: $vgpr205
                                        ; implicit-def: $vgpr204
                                        ; implicit-def: $vgpr126
                                        ; implicit-def: $vgpr124
                                        ; implicit-def: $vgpr201
                                        ; implicit-def: $vgpr108
                                        ; implicit-def: $vgpr99
                                        ; implicit-def: $vgpr96
                                        ; implicit-def: $vgpr94
                                        ; implicit-def: $vgpr95
                                        ; implicit-def: $vgpr97
                                        ; implicit-def: $vgpr106
                                        ; implicit-def: $vgpr109
                                        ; implicit-def: $vgpr54
                                        ; implicit-def: $vgpr52
	v_sub_nc_u16 v2, v0, v1
	v_and_b32_e32 v163, 0xffff, v2
	v_mul_lo_u16 v42, v2, 7
	v_or_b32_e32 v143, 0x220, v163
	v_lshlrev_b32_e32 v11, 2, v163
	v_add_co_u32 v70, null, v163, 34
	s_waitcnt lgkmcnt(0)
	s_load_dwordx4 s[12:15], s[8:9], 0x0
	v_add_co_u32 v74, null, v163, 51
	v_add_co_u32 v12, s6, s0, v11
	v_add_co_ci_u32_e64 v13, null, s1, 0, s6
	s_clause 0x1
	global_load_dword v255, v11, s[0:1]
	global_load_dword v254, v11, s[0:1] offset:340
	v_add_co_u32 v71, null, 0x44, v163
	s_waitcnt lgkmcnt(0)
	v_mad_u64_u32 v[0:1], null, s14, v164, 0
	v_mad_u64_u32 v[5:6], null, s12, v143, 0
	;; [unrolled: 1-line block ×3, first 2 shown]
	s_mul_i32 s6, s13, 0x154
	s_mul_hi_u32 s8, s12, 0x154
	v_mad_u64_u32 v[7:8], null, s15, v164, v[1:2]
	v_mov_b32_e32 v1, v6
	s_mul_i32 s7, s12, 0x154
	v_mad_u64_u32 v[8:9], null, s13, v163, v[4:5]
	s_add_i32 s6, s8, s6
	v_mad_u64_u32 v[9:10], null, s13, v143, v[1:2]
	v_mov_b32_e32 v1, v7
	v_lshlrev_b32_e32 v10, 2, v143
	s_mul_hi_u32 s14, s12, 0xfffff84c
	v_mov_b32_e32 v4, v8
	s_mul_i32 s9, s13, 0xfffff84c
	v_lshlrev_b64 v[0:1], 2, v[0:1]
	v_mov_b32_e32 v6, v9
	s_mul_i32 s8, s12, 0xfffff84c
	v_lshlrev_b64 v[3:4], 2, v[3:4]
	s_sub_i32 s14, s14, s12
	s_mulk_i32 s13, 0xf9a0
	v_add_co_u32 v7, vcc_lo, s18, v0
	v_add_co_ci_u32_e32 v8, vcc_lo, s19, v1, vcc_lo
	v_lshlrev_b64 v[0:1], 2, v[5:6]
	v_add_co_u32 v3, vcc_lo, v7, v3
	v_add_co_ci_u32_e32 v4, vcc_lo, v8, v4, vcc_lo
	s_add_i32 s9, s14, s9
	v_add_co_u32 v0, vcc_lo, v7, v0
	v_add_co_ci_u32_e32 v1, vcc_lo, v8, v1, vcc_lo
	v_add_co_u32 v5, vcc_lo, v3, s7
	v_add_co_ci_u32_e32 v6, vcc_lo, s6, v4, vcc_lo
	global_load_dword v253, v11, s[0:1] offset:680
	global_load_dword v7, v[3:4], off
	global_load_dword v146, v10, s[0:1]
	s_clause 0x1
	global_load_dword v8, v[0:1], off
	global_load_dword v9, v[5:6], off
	v_add_co_u32 v0, vcc_lo, v5, s7
	v_add_co_ci_u32_e32 v1, vcc_lo, s6, v6, vcc_lo
	global_load_dword v76, v11, s[0:1] offset:1020
	v_add_co_u32 v3, vcc_lo, v0, s7
	v_add_co_ci_u32_e32 v4, vcc_lo, s6, v1, vcc_lo
	global_load_dword v162, v11, s[0:1] offset:1360
	global_load_dword v10, v[0:1], off
	s_clause 0x1
	global_load_dword v161, v11, s[0:1] offset:1700
	global_load_dword v160, v11, s[0:1] offset:2040
	global_load_dword v14, v[3:4], off
	v_add_co_u32 v0, vcc_lo, v3, s7
	v_add_co_ci_u32_e32 v1, vcc_lo, s6, v4, vcc_lo
	v_add_co_u32 v3, vcc_lo, v0, s7
	v_add_co_ci_u32_e32 v4, vcc_lo, s6, v1, vcc_lo
	global_load_dword v15, v[0:1], off
	v_add_co_u32 v0, vcc_lo, v3, s7
	v_add_co_ci_u32_e32 v1, vcc_lo, s6, v4, vcc_lo
	global_load_dword v16, v[3:4], off
	v_add_co_u32 v3, vcc_lo, v0, s8
	v_add_co_ci_u32_e32 v4, vcc_lo, s9, v1, vcc_lo
	global_load_dword v159, v11, s[0:1] offset:68
	global_load_dword v17, v[0:1], off
	s_clause 0x1
	global_load_dword v158, v11, s[0:1] offset:408
	global_load_dword v157, v11, s[0:1] offset:748
	global_load_dword v18, v[3:4], off
	v_add_co_u32 v0, vcc_lo, v3, s7
	v_add_co_ci_u32_e32 v1, vcc_lo, s6, v4, vcc_lo
	global_load_dword v156, v11, s[0:1] offset:1088
	v_add_co_u32 v3, vcc_lo, v0, s7
	v_add_co_ci_u32_e32 v4, vcc_lo, s6, v1, vcc_lo
	global_load_dword v19, v[0:1], off
	v_add_co_u32 v0, vcc_lo, v3, s7
	v_add_co_ci_u32_e32 v1, vcc_lo, s6, v4, vcc_lo
	global_load_dword v20, v[3:4], off
	v_add_co_u32 v3, vcc_lo, v0, s7
	v_add_co_ci_u32_e32 v4, vcc_lo, s6, v1, vcc_lo
	s_clause 0x2
	global_load_dword v155, v11, s[0:1] offset:1428
	global_load_dword v154, v11, s[0:1] offset:1768
	;; [unrolled: 1-line block ×3, first 2 shown]
	global_load_dword v21, v[0:1], off
	global_load_dword v22, v[3:4], off
	v_add_co_u32 v0, vcc_lo, v3, s7
	v_add_co_ci_u32_e32 v1, vcc_lo, s6, v4, vcc_lo
	v_add_co_u32 v3, vcc_lo, 0x800, v12
	v_add_co_ci_u32_e32 v4, vcc_lo, 0, v13, vcc_lo
	global_load_dword v12, v[0:1], off
	v_add_co_u32 v0, vcc_lo, v0, s7
	v_add_co_ci_u32_e32 v1, vcc_lo, s6, v1, vcc_lo
	global_load_dword v153, v[3:4], off offset:60
	v_add_co_u32 v5, vcc_lo, v0, s8
	v_add_co_ci_u32_e32 v6, vcc_lo, s9, v1, vcc_lo
	global_load_dword v13, v[0:1], off
	v_add_co_u32 v0, vcc_lo, v5, s7
	v_add_co_ci_u32_e32 v1, vcc_lo, s6, v6, vcc_lo
	global_load_dword v23, v[5:6], off
	v_add_co_u32 v5, vcc_lo, v0, s7
	v_add_co_ci_u32_e32 v6, vcc_lo, s6, v1, vcc_lo
	global_load_dword v151, v11, s[0:1] offset:476
	global_load_dword v24, v[0:1], off
	global_load_dword v150, v11, s[0:1] offset:816
	global_load_dword v25, v[5:6], off
	v_add_co_u32 v0, vcc_lo, v5, s7
	v_add_co_ci_u32_e32 v1, vcc_lo, s6, v6, vcc_lo
	global_load_dword v149, v11, s[0:1] offset:1156
	v_add_co_u32 v5, vcc_lo, v0, s7
	v_add_co_ci_u32_e32 v6, vcc_lo, s6, v1, vcc_lo
	global_load_dword v26, v[0:1], off
	v_add_co_u32 v0, vcc_lo, v5, s7
	v_add_co_ci_u32_e32 v1, vcc_lo, s6, v6, vcc_lo
	global_load_dword v148, v11, s[0:1] offset:1496
	global_load_dword v27, v[5:6], off
	s_clause 0x1
	global_load_dword v147, v11, s[0:1] offset:1836
	global_load_dword v145, v11, s[0:1] offset:204
	v_mad_u64_u32 v[5:6], null, 0xfffff9a0, s12, v[0:1]
	global_load_dword v28, v[0:1], off
	s_sub_i32 s12, s13, s12
	v_add_nc_u32_e32 v6, s12, v6
	v_add_co_u32 v0, vcc_lo, v5, s7
	v_add_co_ci_u32_e32 v1, vcc_lo, s6, v6, vcc_lo
	global_load_dword v29, v[5:6], off
	v_add_co_u32 v5, vcc_lo, v0, s7
	v_add_co_ci_u32_e32 v6, vcc_lo, s6, v1, vcc_lo
	s_clause 0x1
	global_load_dword v144, v11, s[0:1] offset:544
	global_load_dword v142, v11, s[0:1] offset:884
	global_load_dword v30, v[0:1], off
	global_load_dword v141, v11, s[0:1] offset:1224
	global_load_dword v31, v[5:6], off
	v_add_co_u32 v0, vcc_lo, v5, s7
	v_add_co_ci_u32_e32 v1, vcc_lo, s6, v6, vcc_lo
	global_load_dword v139, v11, s[0:1] offset:1564
	v_add_co_u32 v5, vcc_lo, v0, s7
	v_add_co_ci_u32_e32 v6, vcc_lo, s6, v1, vcc_lo
	global_load_dword v32, v[0:1], off
	v_add_co_u32 v0, vcc_lo, v5, s7
	v_add_co_ci_u32_e32 v1, vcc_lo, s6, v6, vcc_lo
	s_clause 0x1
	global_load_dword v138, v11, s[0:1] offset:1904
	global_load_dword v136, v11, s[0:1] offset:272
	global_load_dword v33, v[5:6], off
	global_load_dword v134, v11, s[0:1] offset:952
	global_load_dword v34, v[0:1], off
	v_add_co_u32 v0, vcc_lo, v0, s7
	v_add_co_ci_u32_e32 v1, vcc_lo, s6, v1, vcc_lo
	global_load_dword v137, v[3:4], off offset:196
	v_add_co_u32 v5, vcc_lo, v0, s8
	v_add_co_ci_u32_e32 v6, vcc_lo, s9, v1, vcc_lo
	global_load_dword v35, v[0:1], off
	v_add_co_u32 v0, vcc_lo, v5, s7
	v_add_co_ci_u32_e32 v1, vcc_lo, s6, v6, vcc_lo
	global_load_dword v36, v[5:6], off
	v_add_co_u32 v5, vcc_lo, v0, s7
	v_add_co_ci_u32_e32 v6, vcc_lo, s6, v1, vcc_lo
	s_clause 0x1
	global_load_dword v135, v11, s[0:1] offset:612
	global_load_dword v133, v11, s[0:1] offset:1292
	global_load_dword v37, v[0:1], off
	global_load_dword v131, v11, s[0:1] offset:1972
	global_load_dword v38, v[5:6], off
	v_add_co_u32 v0, vcc_lo, v5, s7
	v_add_co_ci_u32_e32 v1, vcc_lo, s6, v6, vcc_lo
	global_load_dword v132, v11, s[0:1] offset:1632
	v_add_co_u32 v5, vcc_lo, v0, s7
	v_add_co_ci_u32_e32 v6, vcc_lo, s6, v1, vcc_lo
	global_load_dword v39, v[0:1], off
	v_add_co_u32 v0, vcc_lo, v5, s7
	v_add_co_ci_u32_e32 v1, vcc_lo, s6, v6, vcc_lo
	global_load_dword v40, v[5:6], off
	;; [unrolled: 3-line block ×3, first 2 shown]
	global_load_dword v5, v[5:6], off
	global_load_dword v130, v[3:4], off offset:264
	v_mul_hi_u32 v0, 0xaaaaaaab, v164
	s_load_dwordx2 s[8:9], s[4:5], 0x38
	v_add_co_u32 v72, s4, v163, 17
	v_cmp_eq_u16_e32 vcc_lo, 0, v2
                                        ; kill: def $vgpr2 killed $sgpr0 killed $exec
	v_lshrrev_b32_e32 v0, 1, v0
	v_lshl_add_u32 v0, v0, 1, v0
	v_sub_nc_u32_e32 v0, v164, v0
	v_mul_u32_u24_e32 v0, 0x253, v0
	v_lshlrev_b32_e32 v105, 2, v0
	v_add_co_ci_u32_e64 v0, null, 0, 0, s4
	s_load_dwordx4 s[4:7], s[10:11], 0x0
	v_add_nc_u32_e32 v129, v11, v105
	v_add_nc_u32_e32 v0, 0x800, v129
	;; [unrolled: 1-line block ×4, first 2 shown]
	s_waitcnt vmcnt(62)
	v_lshrrev_b32_e32 v3, 16, v7
	v_mul_f16_sdwa v4, v255, v7 dst_sel:DWORD dst_unused:UNUSED_PAD src0_sel:WORD_1 src1_sel:DWORD
	v_lshrrev_b32_e32 v6, 16, v8
	v_mul_f16_sdwa v43, v146, v8 dst_sel:DWORD dst_unused:UNUSED_PAD src0_sel:WORD_1 src1_sel:DWORD
	v_mul_f16_sdwa v45, v254, v9 dst_sel:DWORD dst_unused:UNUSED_PAD src0_sel:WORD_1 src1_sel:DWORD
	;; [unrolled: 1-line block ×3, first 2 shown]
	v_fma_f16 v3, v255, v3, -v4
	v_lshrrev_b32_e32 v4, 16, v9
	v_mul_f16_sdwa v46, v146, v6 dst_sel:DWORD dst_unused:UNUSED_PAD src0_sel:WORD_1 src1_sel:DWORD
	v_fma_f16 v6, v146, v6, -v43
	v_fmac_f16_e32 v44, v255, v7
	s_waitcnt vmcnt(60)
	v_lshrrev_b32_e32 v43, 16, v10
	v_mul_f16_sdwa v7, v254, v4 dst_sel:DWORD dst_unused:UNUSED_PAD src0_sel:WORD_1 src1_sel:DWORD
	v_fma_f16 v4, v254, v4, -v45
	v_mul_f16_sdwa v45, v253, v10 dst_sel:DWORD dst_unused:UNUSED_PAD src0_sel:WORD_1 src1_sel:DWORD
	v_fmac_f16_e32 v46, v146, v8
	v_pack_b32_f16 v3, v44, v3
	v_fmac_f16_e32 v7, v254, v9
	v_mul_f16_sdwa v8, v253, v43 dst_sel:DWORD dst_unused:UNUSED_PAD src0_sel:WORD_1 src1_sel:DWORD
	v_fma_f16 v9, v253, v43, -v45
	s_waitcnt vmcnt(57)
	v_lshrrev_b32_e32 v43, 16, v14
	v_mul_f16_sdwa v44, v76, v14 dst_sel:DWORD dst_unused:UNUSED_PAD src0_sel:WORD_1 src1_sel:DWORD
	v_pack_b32_f16 v4, v7, v4
	v_fmac_f16_e32 v8, v253, v10
	v_pack_b32_f16 v6, v46, v6
	v_mul_f16_sdwa v7, v76, v43 dst_sel:DWORD dst_unused:UNUSED_PAD src0_sel:WORD_1 src1_sel:DWORD
	v_fma_f16 v10, v76, v43, -v44
	s_waitcnt vmcnt(56)
	v_lshrrev_b32_e32 v43, 16, v15
	v_mul_f16_sdwa v44, v162, v15 dst_sel:DWORD dst_unused:UNUSED_PAD src0_sel:WORD_1 src1_sel:DWORD
	ds_write_b32 v129, v4 offset:340
	v_pack_b32_f16 v4, v8, v9
	v_fmac_f16_e32 v7, v76, v14
	v_mul_f16_sdwa v8, v162, v43 dst_sel:DWORD dst_unused:UNUSED_PAD src0_sel:WORD_1 src1_sel:DWORD
	v_fma_f16 v9, v162, v43, -v44
	s_waitcnt vmcnt(55)
	v_lshrrev_b32_e32 v14, 16, v16
	v_mul_f16_sdwa v43, v161, v16 dst_sel:DWORD dst_unused:UNUSED_PAD src0_sel:WORD_1 src1_sel:DWORD
	ds_write_b32 v129, v4 offset:680
	v_pack_b32_f16 v4, v7, v10
	v_fmac_f16_e32 v8, v162, v15
	;; [unrolled: 8-line block ×6, first 2 shown]
	v_mul_f16_sdwa v7, v157, v14 dst_sel:DWORD dst_unused:UNUSED_PAD src0_sel:WORD_1 src1_sel:DWORD
	v_fma_f16 v10, v157, v14, -v15
	s_waitcnt vmcnt(43)
	v_lshrrev_b32_e32 v14, 16, v21
	v_mul_f16_sdwa v15, v156, v21 dst_sel:DWORD dst_unused:UNUSED_PAD src0_sel:WORD_1 src1_sel:DWORD
	ds_write2_b32 v129, v3, v4 offset1:17
	v_pack_b32_f16 v3, v8, v9
	v_fmac_f16_e32 v7, v157, v20
	v_mul_f16_sdwa v4, v156, v14 dst_sel:DWORD dst_unused:UNUSED_PAD src0_sel:WORD_1 src1_sel:DWORD
	s_waitcnt vmcnt(42)
	v_lshrrev_b32_e32 v8, 16, v22
	v_fma_f16 v9, v156, v14, -v15
	v_mul_f16_sdwa v14, v155, v22 dst_sel:DWORD dst_unused:UNUSED_PAD src0_sel:WORD_1 src1_sel:DWORD
	v_pack_b32_f16 v7, v7, v10
	v_fmac_f16_e32 v4, v156, v21
	v_mul_f16_sdwa v10, v155, v8 dst_sel:DWORD dst_unused:UNUSED_PAD src0_sel:WORD_1 src1_sel:DWORD
	s_waitcnt vmcnt(41)
	v_lshrrev_b32_e32 v15, 16, v12
	v_fma_f16 v8, v155, v8, -v14
	v_mul_f16_sdwa v14, v154, v12 dst_sel:DWORD dst_unused:UNUSED_PAD src0_sel:WORD_1 src1_sel:DWORD
	;; [unrolled: 7-line block ×5, first 2 shown]
	v_pack_b32_f16 v10, v10, v15
	v_fmac_f16_e32 v13, v152, v23
	v_mul_f16_sdwa v15, v151, v14 dst_sel:DWORD dst_unused:UNUSED_PAD src0_sel:WORD_1 src1_sel:DWORD
	s_waitcnt vmcnt(34)
	v_lshrrev_b32_e32 v17, 16, v25
	v_mul_f16_sdwa v18, v150, v25 dst_sel:DWORD dst_unused:UNUSED_PAD src0_sel:WORD_1 src1_sel:DWORD
	v_fma_f16 v14, v151, v14, -v16
	v_pack_b32_f16 v12, v13, v12
	v_fmac_f16_e32 v15, v151, v24
	v_mul_f16_sdwa v13, v150, v17 dst_sel:DWORD dst_unused:UNUSED_PAD src0_sel:WORD_1 src1_sel:DWORD
	v_fma_f16 v16, v150, v17, -v18
	s_waitcnt vmcnt(32)
	v_lshrrev_b32_e32 v17, 16, v26
	v_mul_f16_sdwa v18, v149, v26 dst_sel:DWORD dst_unused:UNUSED_PAD src0_sel:WORD_1 src1_sel:DWORD
	ds_write2_b32 v0, v10, v6 offset0:15 offset1:32
	v_pack_b32_f16 v6, v15, v14
	v_fmac_f16_e32 v13, v150, v25
	s_waitcnt vmcnt(30)
	v_lshrrev_b32_e32 v14, 16, v27
	v_mul_f16_sdwa v10, v149, v17 dst_sel:DWORD dst_unused:UNUSED_PAD src0_sel:WORD_1 src1_sel:DWORD
	v_fma_f16 v15, v149, v17, -v18
	v_mul_f16_sdwa v17, v148, v27 dst_sel:DWORD dst_unused:UNUSED_PAD src0_sel:WORD_1 src1_sel:DWORD
	ds_write2_b32 v129, v3, v6 offset0:102 offset1:119
	v_pack_b32_f16 v3, v13, v16
	v_mul_f16_sdwa v6, v148, v14 dst_sel:DWORD dst_unused:UNUSED_PAD src0_sel:WORD_1 src1_sel:DWORD
	s_waitcnt vmcnt(27)
	v_lshrrev_b32_e32 v13, 16, v28
	v_fmac_f16_e32 v10, v149, v26
	v_fma_f16 v14, v148, v14, -v17
	v_mul_f16_sdwa v16, v147, v28 dst_sel:DWORD dst_unused:UNUSED_PAD src0_sel:WORD_1 src1_sel:DWORD
	v_fmac_f16_e32 v6, v148, v27
	v_mul_f16_sdwa v17, v147, v13 dst_sel:DWORD dst_unused:UNUSED_PAD src0_sel:WORD_1 src1_sel:DWORD
	ds_write2_b32 v129, v7, v3 offset0:187 offset1:204
	v_pack_b32_f16 v3, v10, v15
	v_fma_f16 v7, v147, v13, -v16
	v_pack_b32_f16 v6, v6, v14
	v_fmac_f16_e32 v17, v147, v28
	s_waitcnt vmcnt(26)
	v_lshrrev_b32_e32 v10, 16, v29
	ds_write2_b32 v1, v4, v3 offset0:16 offset1:33
	v_mul_f16_sdwa v3, v145, v29 dst_sel:DWORD dst_unused:UNUSED_PAD src0_sel:WORD_1 src1_sel:DWORD
	ds_write2_b32 v1, v8, v6 offset0:101 offset1:118
	v_pack_b32_f16 v4, v17, v7
	v_mul_f16_sdwa v6, v145, v10 dst_sel:DWORD dst_unused:UNUSED_PAD src0_sel:WORD_1 src1_sel:DWORD
	s_waitcnt vmcnt(23)
	v_lshrrev_b32_e32 v7, 16, v30
	v_fma_f16 v3, v145, v10, -v3
	v_mul_f16_sdwa v8, v144, v30 dst_sel:DWORD dst_unused:UNUSED_PAD src0_sel:WORD_1 src1_sel:DWORD
	ds_write2_b32 v1, v9, v4 offset0:186 offset1:203
	v_fmac_f16_e32 v6, v145, v29
	v_mul_f16_sdwa v4, v144, v7 dst_sel:DWORD dst_unused:UNUSED_PAD src0_sel:WORD_1 src1_sel:DWORD
	s_waitcnt vmcnt(21)
	v_lshrrev_b32_e32 v9, 16, v31
	v_mul_f16_sdwa v10, v142, v31 dst_sel:DWORD dst_unused:UNUSED_PAD src0_sel:WORD_1 src1_sel:DWORD
	v_fma_f16 v7, v144, v7, -v8
	v_pack_b32_f16 v3, v6, v3
	v_fmac_f16_e32 v4, v144, v30
	v_mul_f16_sdwa v6, v142, v9 dst_sel:DWORD dst_unused:UNUSED_PAD src0_sel:WORD_1 src1_sel:DWORD
	v_fma_f16 v8, v142, v9, -v10
	s_waitcnt vmcnt(19)
	v_lshrrev_b32_e32 v9, 16, v32
	v_mul_f16_sdwa v10, v141, v32 dst_sel:DWORD dst_unused:UNUSED_PAD src0_sel:WORD_1 src1_sel:DWORD
	ds_write2_b32 v129, v12, v3 offset0:34 offset1:51
	v_pack_b32_f16 v3, v4, v7
	v_fmac_f16_e32 v6, v142, v31
	v_mul_f16_sdwa v4, v141, v9 dst_sel:DWORD dst_unused:UNUSED_PAD src0_sel:WORD_1 src1_sel:DWORD
	s_waitcnt vmcnt(16)
	v_lshrrev_b32_e32 v7, 16, v33
	v_fma_f16 v9, v141, v9, -v10
	v_mul_f16_sdwa v10, v139, v33 dst_sel:DWORD dst_unused:UNUSED_PAD src0_sel:WORD_1 src1_sel:DWORD
	v_pack_b32_f16 v6, v6, v8
	v_fmac_f16_e32 v4, v141, v32
	v_mul_f16_sdwa v8, v139, v7 dst_sel:DWORD dst_unused:UNUSED_PAD src0_sel:WORD_1 src1_sel:DWORD
	s_waitcnt vmcnt(14)
	v_lshrrev_b32_e32 v12, 16, v34
	v_fma_f16 v7, v139, v7, -v10
	v_mul_f16_sdwa v10, v138, v34 dst_sel:DWORD dst_unused:UNUSED_PAD src0_sel:WORD_1 src1_sel:DWORD
	;; [unrolled: 7-line block ×5, first 2 shown]
	v_pack_b32_f16 v8, v8, v12
	v_fmac_f16_e32 v10, v136, v36
	v_mul_f16_sdwa v12, v135, v15 dst_sel:DWORD dst_unused:UNUSED_PAD src0_sel:WORD_1 src1_sel:DWORD
	s_waitcnt vmcnt(6)
	v_lshrrev_b32_e32 v16, 16, v38
	v_mul_f16_sdwa v17, v134, v38 dst_sel:DWORD dst_unused:UNUSED_PAD src0_sel:WORD_1 src1_sel:DWORD
	v_fma_f16 v14, v135, v15, -v14
	v_pack_b32_f16 v10, v10, v13
	v_fmac_f16_e32 v12, v135, v37
	v_mul_f16_sdwa v13, v134, v16 dst_sel:DWORD dst_unused:UNUSED_PAD src0_sel:WORD_1 src1_sel:DWORD
	v_fma_f16 v15, v134, v16, -v17
	s_waitcnt vmcnt(4)
	v_lshrrev_b32_e32 v16, 16, v39
	v_mul_f16_sdwa v17, v133, v39 dst_sel:DWORD dst_unused:UNUSED_PAD src0_sel:WORD_1 src1_sel:DWORD
	ds_write_b32 v129, v10 offset:272
	v_pack_b32_f16 v10, v12, v14
	s_waitcnt vmcnt(1)
	v_lshrrev_b32_e32 v18, 16, v5
	v_mul_f16_sdwa v12, v133, v16 dst_sel:DWORD dst_unused:UNUSED_PAD src0_sel:WORD_1 src1_sel:DWORD
	v_fma_f16 v14, v133, v16, -v17
	v_lshrrev_b32_e32 v16, 16, v40
	v_mul_f16_sdwa v17, v132, v40 dst_sel:DWORD dst_unused:UNUSED_PAD src0_sel:WORD_1 src1_sel:DWORD
	ds_write2_b32 v129, v3, v10 offset0:136 offset1:153
	v_lshrrev_b32_e32 v3, 16, v41
	s_waitcnt vmcnt(0)
	v_mul_f16_sdwa v20, v130, v5 dst_sel:DWORD dst_unused:UNUSED_PAD src0_sel:WORD_1 src1_sel:DWORD
	v_mul_f16_sdwa v10, v132, v16 dst_sel:DWORD dst_unused:UNUSED_PAD src0_sel:WORD_1 src1_sel:DWORD
	v_fma_f16 v16, v132, v16, -v17
	v_mul_f16_sdwa v17, v131, v41 dst_sel:DWORD dst_unused:UNUSED_PAD src0_sel:WORD_1 src1_sel:DWORD
	v_mul_f16_sdwa v19, v131, v3 dst_sel:DWORD dst_unused:UNUSED_PAD src0_sel:WORD_1 src1_sel:DWORD
	;; [unrolled: 1-line block ×3, first 2 shown]
	v_fmac_f16_e32 v13, v134, v38
	v_fmac_f16_e32 v12, v133, v39
	;; [unrolled: 1-line block ×3, first 2 shown]
	v_fma_f16 v3, v131, v3, -v17
	v_fmac_f16_e32 v19, v131, v41
	v_fma_f16 v17, v130, v18, -v20
	v_fmac_f16_e32 v21, v130, v5
	v_pack_b32_f16 v5, v13, v15
	v_pack_b32_f16 v12, v12, v14
	v_pack_b32_f16 v10, v10, v16
	v_pack_b32_f16 v3, v19, v3
	v_pack_b32_f16 v13, v21, v17
	ds_write2_b32 v129, v6, v5 offset0:221 offset1:238
	ds_write2_b32 v1, v4, v12 offset0:50 offset1:67
	;; [unrolled: 1-line block ×5, first 2 shown]
	s_waitcnt lgkmcnt(0)
	s_barrier
	buffer_gl0_inv
	ds_read2_b32 v[3:4], v129 offset0:102 offset1:119
	ds_read2_b32 v[5:6], v129 offset0:170 offset1:187
	;; [unrolled: 1-line block ×12, first 2 shown]
	v_and_b32_e32 v27, 0xffff, v42
	v_mul_u32_u24_e32 v28, 7, v72
	v_mul_u32_u24_e32 v29, 7, v70
	;; [unrolled: 1-line block ×3, first 2 shown]
	v_lshl_add_u32 v104, v27, 2, v105
	v_lshl_add_u32 v103, v28, 2, v105
	;; [unrolled: 1-line block ×3, first 2 shown]
	ds_read2_b32 v[27:28], v129 offset1:17
	ds_read2_b32 v[29:30], v129 offset0:34 offset1:51
	v_lshl_add_u32 v101, v44, 2, v105
	s_waitcnt lgkmcnt(10)
	v_pk_add_f16 v33, v7, v10
	s_waitcnt lgkmcnt(9)
	v_pk_add_f16 v31, v3, v12
	s_waitcnt lgkmcnt(8)
	v_pk_add_f16 v32, v6, v13
	v_pk_add_f16 v3, v3, v12 neg_lo:[0,1] neg_hi:[0,1]
	v_pk_add_f16 v6, v6, v13 neg_lo:[0,1] neg_hi:[0,1]
	v_pk_add_f16 v7, v10, v7 neg_lo:[0,1] neg_hi:[0,1]
	s_waitcnt lgkmcnt(7)
	v_pk_add_f16 v10, v4, v15
	s_waitcnt lgkmcnt(6)
	v_pk_add_f16 v12, v17, v14
	s_waitcnt lgkmcnt(5)
	v_pk_add_f16 v13, v8, v19
	v_pk_add_f16 v4, v4, v15 neg_lo:[0,1] neg_hi:[0,1]
	v_pk_add_f16 v14, v17, v14 neg_lo:[0,1] neg_hi:[0,1]
	v_pk_add_f16 v8, v19, v8 neg_lo:[0,1] neg_hi:[0,1]
	;; [unrolled: 9-line block ×3, first 2 shown]
	v_pk_add_f16 v21, v32, v31
	v_pk_add_f16 v23, v32, v31 neg_lo:[0,1] neg_hi:[0,1]
	v_pk_add_f16 v25, v31, v33 neg_lo:[0,1] neg_hi:[0,1]
	v_pk_add_f16 v31, v7, v6
	v_pk_add_f16 v34, v3, v7 neg_lo:[0,1] neg_hi:[0,1]
	v_pk_add_f16 v35, v6, v3 neg_lo:[0,1] neg_hi:[0,1]
	;; [unrolled: 1-line block ×3, first 2 shown]
	v_pk_add_f16 v7, v12, v10
	v_pk_add_f16 v36, v12, v10 neg_lo:[0,1] neg_hi:[0,1]
	v_pk_add_f16 v10, v10, v13 neg_lo:[0,1] neg_hi:[0,1]
	v_pk_add_f16 v37, v8, v14
	v_pk_add_f16 v38, v4, v8 neg_lo:[0,1] neg_hi:[0,1]
	v_pk_add_f16 v39, v14, v4 neg_lo:[0,1] neg_hi:[0,1]
	;; [unrolled: 1-line block ×3, first 2 shown]
	v_pk_add_f16 v14, v17, v15
	v_pk_add_f16 v41, v20, v18
	v_pk_add_f16 v42, v16, v20 neg_lo:[0,1] neg_hi:[0,1]
	v_pk_add_f16 v43, v18, v16 neg_lo:[0,1] neg_hi:[0,1]
	;; [unrolled: 1-line block ×3, first 2 shown]
	v_pk_add_f16 v20, v33, v21
	v_pk_add_f16 v3, v31, v3
	v_pk_mul_f16 v21, 0x3a52, v25 op_sel_hi:[0,1]
	v_pk_mul_f16 v25, 0x3574, v34 op_sel_hi:[0,1]
	;; [unrolled: 1-line block ×3, first 2 shown]
	v_pk_add_f16 v7, v13, v7
	v_pk_add_f16 v32, v33, v32 neg_lo:[0,1] neg_hi:[0,1]
	v_pk_add_f16 v12, v13, v12 neg_lo:[0,1] neg_hi:[0,1]
	v_pk_mul_f16 v23, 0x39e0, v23 op_sel_hi:[0,1]
	v_pk_mul_f16 v10, 0x3a52, v10 op_sel_hi:[0,1]
	;; [unrolled: 1-line block ×5, first 2 shown]
	v_pk_add_f16 v14, v19, v14
	s_waitcnt lgkmcnt(1)
	v_pk_add_f16 v28, v28, v20
	v_pk_fma_f16 v34, 0x3574, v34, v31 op_sel_hi:[0,1,1] neg_lo:[0,1,1] neg_hi:[0,1,1]
	v_pk_fma_f16 v31, 0xb846, v6, v31 op_sel_hi:[0,1,1] neg_lo:[0,1,0] neg_hi:[0,1,0]
	v_pk_fma_f16 v6, 0xb846, v6, v25 op_sel_hi:[0,1,1]
	s_waitcnt lgkmcnt(0)
	v_pk_add_f16 v25, v29, v7
	v_pk_add_f16 v40, v17, v15 neg_lo:[0,1] neg_hi:[0,1]
	v_pk_add_f16 v15, v15, v19 neg_lo:[0,1] neg_hi:[0,1]
	v_pk_add_f16 v4, v37, v4
	v_pk_add_f16 v37, v21, v23 op_sel:[1,1] op_sel_hi:[0,0] neg_lo:[1,1] neg_hi:[1,1]
	v_pk_fma_f16 v23, 0x2b26, v32, v23 op_sel_hi:[0,1,1] neg_lo:[0,1,0] neg_hi:[0,1,0]
	v_pk_fma_f16 v21, 0x2b26, v32, v21 op_sel_hi:[0,1,1]
	v_pk_add_f16 v29, v10, v13 op_sel:[1,1] op_sel_hi:[0,0] neg_lo:[1,1] neg_hi:[1,1]
	v_pk_fma_f16 v32, 0x3574, v38, v35 op_sel_hi:[0,1,1] neg_lo:[0,1,1] neg_hi:[0,1,1]
	v_pk_fma_f16 v13, 0x2b26, v12, v13 op_sel_hi:[0,1,1] neg_lo:[0,1,0] neg_hi:[0,1,0]
	;; [unrolled: 1-line block ×3, first 2 shown]
	v_pk_fma_f16 v8, 0xb846, v8, v33 op_sel_hi:[0,1,1]
	v_pk_add_f16 v30, v30, v14
	v_pk_fma_f16 v20, 0x3cab, v20, v28 op_sel_hi:[0,1,1] neg_lo:[0,1,0] neg_hi:[0,1,0]
	v_pk_fma_f16 v34, 0x370e, v3, v34 op_sel_hi:[0,1,1]
	v_pk_fma_f16 v31, 0x370e, v3, v31 op_sel_hi:[0,1,1]
	;; [unrolled: 1-line block ×3, first 2 shown]
	v_pk_fma_f16 v6, 0x3cab, v7, v25 op_sel_hi:[0,1,1] neg_lo:[0,1,0] neg_hi:[0,1,0]
	v_pk_add_f16 v17, v19, v17 neg_lo:[0,1] neg_hi:[0,1]
	v_pk_mul_f16 v15, 0x3a52, v15 op_sel_hi:[0,1]
	v_pk_mul_f16 v19, 0x39e0, v40 op_sel_hi:[0,1]
	v_pk_fma_f16 v10, 0x2b26, v12, v10 op_sel_hi:[0,1,1]
	v_pk_fma_f16 v7, 0x370e, v4, v32 op_sel_hi:[0,1,1]
	v_pk_fma_f16 v32, 0x370e, v4, v35 op_sel_hi:[0,1,1]
	v_pk_fma_f16 v4, 0x370e, v4, v8 op_sel_hi:[0,1,1]
	v_pk_fma_f16 v8, 0x3cab, v14, v30 op_sel_hi:[0,1,1] neg_lo:[0,1,0] neg_hi:[0,1,0]
	v_pk_add_f16 v14, v37, v20 op_sel:[0,1] op_sel_hi:[1,0]
	v_pk_add_f16 v23, v23, v20
	v_pk_add_f16 v20, v21, v20
	v_pk_add_f16 v21, v29, v6 op_sel:[0,1] op_sel_hi:[1,0]
	v_pk_add_f16 v13, v13, v6
	v_pk_add_f16 v12, v15, v19 op_sel:[1,1] op_sel_hi:[0,0] neg_lo:[1,1] neg_hi:[1,1]
	v_pk_add_f16 v6, v10, v6
	v_pk_add_f16 v29, v23, v31 op_sel:[0,1] op_sel_hi:[1,0] neg_lo:[0,1] neg_hi:[0,1]
	v_pk_add_f16 v23, v23, v31 op_sel:[0,1] op_sel_hi:[1,0]
	v_pk_add_f16 v31, v20, v3 op_sel:[0,1] op_sel_hi:[1,0]
	v_pk_add_f16 v20, v20, v3 op_sel:[0,1] op_sel_hi:[1,0] neg_lo:[0,1] neg_hi:[0,1]
	v_pk_add_f16 v3, v21, v7
	v_pk_add_f16 v7, v21, v7 neg_lo:[0,1] neg_hi:[0,1]
	v_pk_add_f16 v21, v13, v32 op_sel:[0,1] op_sel_hi:[1,0] neg_lo:[0,1] neg_hi:[0,1]
	v_pk_add_f16 v13, v13, v32 op_sel:[0,1] op_sel_hi:[1,0]
	v_pk_add_f16 v16, v41, v16
	v_pk_mul_f16 v36, 0x3b00, v43 op_sel_hi:[0,1]
	v_pk_add_f16 v10, v14, v34
	v_pk_add_f16 v14, v14, v34 neg_lo:[0,1] neg_hi:[0,1]
	v_pk_add_f16 v32, v6, v4 op_sel:[0,1] op_sel_hi:[1,0]
	v_pk_add_f16 v34, v6, v4 op_sel:[0,1] op_sel_hi:[1,0] neg_lo:[0,1] neg_hi:[0,1]
	v_bfi_b32 v37, 0xffff, v29, v23
	v_bfi_b32 v23, 0xffff, v23, v29
	v_alignbit_b32 v29, v7, v3, 16
	v_bfi_b32 v38, 0xffff, v21, v13
	v_bfi_b32 v21, 0xffff, v13, v21
	v_alignbit_b32 v39, v3, v7, 16
	v_pk_add_f16 v40, v12, v8 op_sel:[0,1] op_sel_hi:[1,0]
	ds_read_b32 v41, v129 offset:2312
	ds_read2_b32 v[3:4], v129 offset0:238 offset1:255
	ds_read2_b32 v[6:7], v129 offset0:68 offset1:85
	;; [unrolled: 1-line block ×3, first 2 shown]
	v_pk_fma_f16 v33, 0x3574, v42, v36 op_sel_hi:[0,1,1] neg_lo:[0,1,1] neg_hi:[0,1,1]
	v_pk_fma_f16 v19, 0x2b26, v17, v19 op_sel_hi:[0,1,1] neg_lo:[0,1,0] neg_hi:[0,1,0]
	;; [unrolled: 1-line block ×3, first 2 shown]
	v_pk_fma_f16 v15, 0x2b26, v17, v15 op_sel_hi:[0,1,1]
	v_alignbit_b32 v35, v14, v10, 16
	v_pk_fma_f16 v33, 0x370e, v16, v33 op_sel_hi:[0,1,1]
	v_pk_add_f16 v19, v19, v8
	v_pk_fma_f16 v36, 0x370e, v16, v36 op_sel_hi:[0,1,1]
	v_pk_add_f16 v8, v15, v8
	s_waitcnt lgkmcnt(0)
	v_pk_add_f16 v45, v40, v33
	v_pk_add_f16 v33, v40, v33 neg_lo:[0,1] neg_hi:[0,1]
	v_pk_add_f16 v40, v19, v36 op_sel:[0,1] op_sel_hi:[1,0] neg_lo:[0,1] neg_hi:[0,1]
	v_pk_add_f16 v19, v19, v36 op_sel:[0,1] op_sel_hi:[1,0]
	v_pk_mul_f16 v36, 0x3574, v42 op_sel_hi:[0,1]
	s_barrier
	buffer_gl0_inv
	v_pk_add_f16 v47, v4, v9
	v_bfi_b32 v42, 0xffff, v40, v19
	v_bfi_b32 v19, 0xffff, v19, v40
	v_pk_fma_f16 v18, 0xb846, v18, v36 op_sel_hi:[0,1,1]
	v_pk_add_f16 v40, v7, v11
	v_pk_add_f16 v44, v5, v13
	v_pk_add_f16 v5, v5, v13 neg_lo:[0,1] neg_hi:[0,1]
	v_pk_add_f16 v4, v9, v4 neg_lo:[0,1] neg_hi:[0,1]
	v_pk_fma_f16 v16, 0x370e, v16, v18 op_sel_hi:[0,1,1]
	v_pk_add_f16 v7, v7, v11 neg_lo:[0,1] neg_hi:[0,1]
	v_pk_add_f16 v48, v44, v40
	v_pk_add_f16 v9, v40, v47 neg_lo:[0,1] neg_hi:[0,1]
	v_pk_add_f16 v13, v4, v5
	v_pk_add_f16 v49, v8, v16 op_sel:[0,1] op_sel_hi:[1,0]
	v_pk_add_f16 v8, v8, v16 op_sel:[0,1] op_sel_hi:[1,0] neg_lo:[0,1] neg_hi:[0,1]
	v_mul_u32_u24_e32 v16, 7, v71
	v_pk_add_f16 v48, v47, v48
	v_pk_add_f16 v11, v44, v40 neg_lo:[0,1] neg_hi:[0,1]
	v_pk_add_f16 v40, v7, v4 neg_lo:[0,1] neg_hi:[0,1]
	v_pk_mul_f16 v9, 0x3a52, v9 op_sel_hi:[0,1]
	v_lshl_add_u32 v102, v16, 2, v105
	v_pk_add_f16 v16, v27, v48
	v_pk_add_f16 v27, v5, v7 neg_lo:[0,1] neg_hi:[0,1]
	v_pk_add_f16 v7, v13, v7
	v_pk_mul_f16 v11, 0x39e0, v11 op_sel_hi:[0,1]
	v_pk_add_f16 v44, v47, v44 neg_lo:[0,1] neg_hi:[0,1]
	v_pk_add_f16 v4, v4, v5 neg_lo:[0,1] neg_hi:[0,1]
	v_pk_mul_f16 v13, 0x3b00, v27 op_sel_hi:[0,1]
	v_pk_fma_f16 v27, 0x3cab, v48, v16 op_sel_hi:[0,1,1] neg_lo:[0,1,0] neg_hi:[0,1,0]
	v_pk_add_f16 v48, v9, v11 op_sel:[1,1] op_sel_hi:[0,0] neg_lo:[1,1] neg_hi:[1,1]
	v_pk_fma_f16 v11, 0x2b26, v44, v11 op_sel_hi:[0,1,1] neg_lo:[0,1,0] neg_hi:[0,1,0]
	v_pk_fma_f16 v9, 0x2b26, v44, v9 op_sel_hi:[0,1,1]
	v_pk_fma_f16 v5, 0x3574, v40, v13 op_sel_hi:[0,1,1] neg_lo:[0,1,1] neg_hi:[0,1,1]
	v_pk_mul_f16 v40, 0x3574, v40 op_sel_hi:[0,1]
	v_pk_fma_f16 v13, 0xb846, v4, v13 op_sel_hi:[0,1,1] neg_lo:[0,1,0] neg_hi:[0,1,0]
	v_pk_add_f16 v47, v48, v27 op_sel:[0,1] op_sel_hi:[1,0]
	v_pk_add_f16 v11, v11, v27
	v_pk_fma_f16 v5, 0x370e, v7, v5 op_sel_hi:[0,1,1]
	v_pk_fma_f16 v4, 0xb846, v4, v40 op_sel_hi:[0,1,1]
	;; [unrolled: 1-line block ×3, first 2 shown]
	v_pk_add_f16 v9, v9, v27
	v_alignbit_b32 v10, v10, v14, 16
	v_pk_add_f16 v40, v47, v5
	v_pk_fma_f16 v4, 0x370e, v7, v4 op_sel_hi:[0,1,1]
	v_pk_add_f16 v5, v47, v5 neg_lo:[0,1] neg_hi:[0,1]
	v_pk_add_f16 v7, v11, v13 op_sel:[0,1] op_sel_hi:[1,0] neg_lo:[0,1] neg_hi:[0,1]
	v_pk_add_f16 v11, v11, v13 op_sel:[0,1] op_sel_hi:[1,0]
	v_bfi_b32 v14, 0xffff, v20, v31
	v_pk_add_f16 v13, v9, v4 op_sel:[0,1] op_sel_hi:[1,0]
	v_pk_add_f16 v4, v9, v4 op_sel:[0,1] op_sel_hi:[1,0] neg_lo:[0,1] neg_hi:[0,1]
	v_alignbit_b32 v9, v5, v40, 16
	v_bfi_b32 v27, 0xffff, v7, v11
	v_bfi_b32 v7, 0xffff, v11, v7
	v_alignbit_b32 v5, v40, v5, 16
	v_bfi_b32 v11, 0xffff, v13, v4
	v_bfi_b32 v4, 0xffff, v4, v13
	ds_write2_b32 v104, v9, v27 offset0:2 offset1:3
	ds_write2_b32 v104, v7, v5 offset0:4 offset1:5
	ds_write2_b32 v104, v16, v11 offset1:1
	v_bfi_b32 v5, 0xffff, v31, v20
	v_pk_add_f16 v15, v22, v41
	v_pk_add_f16 v36, v3, v24
	ds_write_b32 v104, v4 offset:24
	ds_write2_b32 v103, v35, v37 offset0:2 offset1:3
	ds_write2_b32 v103, v23, v10 offset0:4 offset1:5
	v_bfi_b32 v4, 0xffff, v32, v34
	v_bfi_b32 v43, 0xffff, v34, v32
	v_alignbit_b32 v17, v33, v45, 16
	v_alignbit_b32 v33, v45, v33, 16
	ds_write2_b32 v103, v28, v5 offset1:1
	ds_write_b32 v103, v14 offset:24
	ds_write2_b32 v100, v29, v38 offset0:2 offset1:3
	ds_write2_b32 v100, v21, v39 offset0:4 offset1:5
	ds_write2_b32 v100, v25, v4 offset1:1
	ds_write_b32 v100, v43 offset:24
	ds_write2_b32 v101, v17, v42 offset0:2 offset1:3
	ds_write2_b32 v101, v19, v33 offset0:4 offset1:5
	v_pk_add_f16 v3, v3, v24 neg_lo:[0,1] neg_hi:[0,1]
	v_pk_add_f16 v4, v12, v26 neg_lo:[0,1] neg_hi:[0,1]
	;; [unrolled: 1-line block ×3, first 2 shown]
	v_pk_add_f16 v18, v26, v12
	v_pk_add_f16 v46, v36, v15
	v_pk_add_f16 v9, v36, v15 neg_lo:[0,1] neg_hi:[0,1]
	v_pk_add_f16 v10, v4, v3
	v_pk_add_f16 v11, v3, v5 neg_lo:[0,1] neg_hi:[0,1]
	v_pk_add_f16 v7, v15, v18 neg_lo:[0,1] neg_hi:[0,1]
	v_pk_add_f16 v46, v18, v46
	v_pk_add_f16 v12, v5, v4 neg_lo:[0,1] neg_hi:[0,1]
	v_pk_add_f16 v5, v10, v5
	v_pk_mul_f16 v10, 0x3b00, v11 op_sel_hi:[0,1]
	v_pk_mul_f16 v7, 0x3a52, v7 op_sel_hi:[0,1]
	v_pk_add_f16 v6, v6, v46
	v_pk_mul_f16 v9, 0x39e0, v9 op_sel_hi:[0,1]
	v_pk_add_f16 v14, v18, v36 neg_lo:[0,1] neg_hi:[0,1]
	v_pk_add_f16 v3, v4, v3 neg_lo:[0,1] neg_hi:[0,1]
	v_pk_fma_f16 v4, 0x3574, v12, v10 op_sel_hi:[0,1,1] neg_lo:[0,1,1] neg_hi:[0,1,1]
	v_pk_mul_f16 v12, 0x3574, v12 op_sel_hi:[0,1]
	v_pk_fma_f16 v11, 0x3cab, v46, v6 op_sel_hi:[0,1,1] neg_lo:[0,1,0] neg_hi:[0,1,0]
	v_pk_add_f16 v13, v7, v9 op_sel:[1,1] op_sel_hi:[0,0] neg_lo:[1,1] neg_hi:[1,1]
	v_pk_fma_f16 v9, 0x2b26, v14, v9 op_sel_hi:[0,1,1] neg_lo:[0,1,0] neg_hi:[0,1,0]
	v_pk_fma_f16 v10, 0xb846, v3, v10 op_sel_hi:[0,1,1] neg_lo:[0,1,0] neg_hi:[0,1,0]
	v_pk_fma_f16 v7, 0x2b26, v14, v7 op_sel_hi:[0,1,1]
	v_pk_fma_f16 v3, 0xb846, v3, v12 op_sel_hi:[0,1,1]
	v_pk_add_f16 v13, v13, v11 op_sel:[0,1] op_sel_hi:[1,0]
	v_pk_fma_f16 v4, 0x370e, v5, v4 op_sel_hi:[0,1,1]
	v_pk_add_f16 v9, v9, v11
	v_pk_fma_f16 v10, 0x370e, v5, v10 op_sel_hi:[0,1,1]
	v_pk_add_f16 v7, v7, v11
	;; [unrolled: 2-line block ×3, first 2 shown]
	v_pk_add_f16 v4, v13, v4 neg_lo:[0,1] neg_hi:[0,1]
	v_pk_add_f16 v5, v9, v10 op_sel:[0,1] op_sel_hi:[1,0] neg_lo:[0,1] neg_hi:[0,1]
	v_pk_add_f16 v9, v9, v10 op_sel:[0,1] op_sel_hi:[1,0]
	v_bfi_b32 v45, 0xffff, v8, v49
	v_bfi_b32 v8, 0xffff, v49, v8
	v_pk_add_f16 v13, v7, v3 op_sel:[0,1] op_sel_hi:[1,0]
	v_pk_add_f16 v48, v7, v3 op_sel:[0,1] op_sel_hi:[1,0] neg_lo:[0,1] neg_hi:[0,1]
	v_alignbit_b32 v3, v4, v12, 16
	v_bfi_b32 v7, 0xffff, v5, v9
	v_bfi_b32 v5, 0xffff, v9, v5
	v_alignbit_b32 v4, v12, v4, 16
	ds_write2_b32 v101, v30, v8 offset1:1
	v_bfi_b32 v8, 0xffff, v13, v48
	v_bfi_b32 v9, 0xffff, v48, v13
	ds_write_b32 v101, v45 offset:24
	ds_write2_b32 v102, v3, v7 offset0:2 offset1:3
	ds_write2_b32 v102, v5, v4 offset0:4 offset1:5
	ds_write2_b32 v102, v6, v8 offset1:1
	ds_write_b32 v102, v9 offset:24
	v_add_nc_u32_e32 v3, 0x200, v129
	s_waitcnt lgkmcnt(0)
	s_barrier
	buffer_gl0_inv
	ds_read2_b32 v[50:51], v129 offset1:17
	ds_read2_b32 v[38:39], v129 offset0:35 offset1:52
	ds_read2_b32 v[36:37], v129 offset0:70 offset1:87
	;; [unrolled: 1-line block ×16, first 2 shown]
	v_lshrrev_b32_e32 v73, 16, v13
                                        ; implicit-def: $vgpr13
                                        ; implicit-def: $vgpr14
                                        ; implicit-def: $vgpr5
                                        ; implicit-def: $vgpr7
                                        ; implicit-def: $vgpr3
	s_and_saveexec_b32 s10, vcc_lo
	s_cbranch_execz .LBB0_3
; %bb.2:
	v_add_nc_u32_e32 v16, 0x400, v105
	v_add_nc_u32_e32 v4, 0x200, v105
	;; [unrolled: 1-line block ×3, first 2 shown]
	ds_read2_b32 v[48:49], v105 offset0:34 offset1:69
	ds_read2_b32 v[2:3], v105 offset0:104 offset1:139
	;; [unrolled: 1-line block ×8, first 2 shown]
	ds_read_b32 v124, v105 offset:2376
	s_waitcnt lgkmcnt(8)
	v_lshrrev_b32_e32 v73, 16, v48
	v_lshrrev_b32_e32 v109, 16, v49
	s_waitcnt lgkmcnt(7)
	v_lshrrev_b32_e32 v106, 16, v2
	v_lshrrev_b32_e32 v97, 16, v3
	;; [unrolled: 3-line block ×8, first 2 shown]
	s_waitcnt lgkmcnt(0)
	v_lshrrev_b32_e32 v201, 16, v124
.LBB0_3:
	s_or_b32 exec_lo, exec_lo, s10
	v_and_b32_e32 v24, 0xff, v163
	v_mov_b32_e32 v119, 6
	s_waitcnt lgkmcnt(15)
	v_lshrrev_b32_e32 v16, 16, v38
	s_waitcnt lgkmcnt(14)
	v_lshrrev_b32_e32 v17, 16, v36
	s_waitcnt lgkmcnt(13)
	v_lshrrev_b32_e32 v18, 16, v68
	v_mul_lo_u16 v24, v24, 37
	s_waitcnt lgkmcnt(12)
	v_lshrrev_b32_e32 v19, 16, v66
	s_waitcnt lgkmcnt(11)
	v_lshrrev_b32_e32 v20, 16, v64
	;; [unrolled: 2-line block ×4, first 2 shown]
	v_lshrrev_b16 v24, 8, v24
	s_waitcnt lgkmcnt(8)
	v_lshrrev_b32_e32 v23, 16, v32
	s_waitcnt lgkmcnt(7)
	v_lshrrev_b32_e32 v40, 16, v60
	;; [unrolled: 2-line block ×4, first 2 shown]
	v_sub_nc_u16 v25, v163, v24
	s_waitcnt lgkmcnt(4)
	v_lshrrev_b32_e32 v86, 16, v43
	s_waitcnt lgkmcnt(3)
	v_lshrrev_b32_e32 v88, 16, v56
	;; [unrolled: 2-line block ×4, first 2 shown]
	v_lshrrev_b16 v25, 1, v25
	s_waitcnt lgkmcnt(0)
	v_lshrrev_b32_e32 v92, 16, v0
	v_lshrrev_b32_e32 v85, 16, v39
	;; [unrolled: 1-line block ×4, first 2 shown]
	v_and_b32_e32 v25, 0x7f, v25
	v_lshrrev_b32_e32 v81, 16, v67
	v_lshrrev_b32_e32 v80, 16, v65
	;; [unrolled: 1-line block ×4, first 2 shown]
	v_add_nc_u16 v24, v25, v24
	v_lshrrev_b32_e32 v79, 16, v33
	v_lshrrev_b32_e32 v83, 16, v61
	;; [unrolled: 1-line block ×4, first 2 shown]
	v_lshrrev_b16 v115, 2, v24
	v_lshrrev_b32_e32 v47, 16, v44
	v_lshrrev_b32_e32 v111, 16, v57
	;; [unrolled: 1-line block ×4, first 2 shown]
	v_mul_lo_u16 v24, v115, 7
	v_lshrrev_b32_e32 v98, 16, v1
	v_sub_nc_u16 v116, v163, v24
	v_lshlrev_b32_sdwa v112, v119, v116 dst_sel:DWORD dst_unused:UNUSED_PAD src0_sel:DWORD src1_sel:BYTE_0
	global_load_dwordx4 v[28:31], v112, s[2:3]
	s_waitcnt vmcnt(0)
	v_mul_f16_sdwa v24, v16, v28 dst_sel:DWORD dst_unused:UNUSED_PAD src0_sel:DWORD src1_sel:WORD_1
	v_mul_f16_sdwa v199, v38, v28 dst_sel:DWORD dst_unused:UNUSED_PAD src0_sel:DWORD src1_sel:WORD_1
	;; [unrolled: 1-line block ×5, first 2 shown]
	v_fma_f16 v208, v38, v28, -v24
	global_load_dwordx4 v[24:27], v112, s[2:3] offset:16
	v_fmac_f16_e32 v199, v16, v28
	v_mul_f16_sdwa v16, v17, v29 dst_sel:DWORD dst_unused:UNUSED_PAD src0_sel:DWORD src1_sel:WORD_1
	v_fmac_f16_e32 v196, v17, v29
	v_fmac_f16_e32 v192, v18, v30
	;; [unrolled: 1-line block ×3, first 2 shown]
	v_fma_f16 v195, v36, v29, -v16
	v_mul_f16_sdwa v16, v18, v30 dst_sel:DWORD dst_unused:UNUSED_PAD src0_sel:DWORD src1_sel:WORD_1
	v_fma_f16 v191, v68, v30, -v16
	v_mul_f16_sdwa v16, v19, v31 dst_sel:DWORD dst_unused:UNUSED_PAD src0_sel:DWORD src1_sel:WORD_1
	v_fma_f16 v187, v66, v31, -v16
	s_waitcnt vmcnt(0)
	v_mul_f16_sdwa v16, v20, v24 dst_sel:DWORD dst_unused:UNUSED_PAD src0_sel:DWORD src1_sel:WORD_1
	v_mul_f16_sdwa v184, v64, v24 dst_sel:DWORD dst_unused:UNUSED_PAD src0_sel:DWORD src1_sel:WORD_1
	;; [unrolled: 1-line block ×5, first 2 shown]
	v_fma_f16 v183, v64, v24, -v16
	v_mul_f16_sdwa v16, v21, v25 dst_sel:DWORD dst_unused:UNUSED_PAD src0_sel:DWORD src1_sel:WORD_1
	v_fmac_f16_e32 v184, v20, v24
	v_fmac_f16_e32 v180, v21, v25
	;; [unrolled: 1-line block ×4, first 2 shown]
	v_fma_f16 v179, v62, v25, -v16
	v_mul_f16_sdwa v16, v22, v26 dst_sel:DWORD dst_unused:UNUSED_PAD src0_sel:DWORD src1_sel:WORD_1
	v_fma_f16 v121, v34, v26, -v16
	v_mul_f16_sdwa v16, v23, v27 dst_sel:DWORD dst_unused:UNUSED_PAD src0_sel:DWORD src1_sel:WORD_1
	global_load_dwordx4 v[20:23], v112, s[2:3] offset:32
	v_fma_f16 v114, v32, v27, -v16
	s_waitcnt vmcnt(0)
	v_mul_f16_sdwa v16, v40, v20 dst_sel:DWORD dst_unused:UNUSED_PAD src0_sel:DWORD src1_sel:WORD_1
	v_mul_f16_sdwa v120, v60, v20 dst_sel:DWORD dst_unused:UNUSED_PAD src0_sel:DWORD src1_sel:WORD_1
	;; [unrolled: 1-line block ×5, first 2 shown]
	v_fma_f16 v118, v60, v20, -v16
	v_mul_f16_sdwa v16, v41, v21 dst_sel:DWORD dst_unused:UNUSED_PAD src0_sel:DWORD src1_sel:WORD_1
	v_fmac_f16_e32 v120, v40, v20
	v_fmac_f16_e32 v125, v41, v21
	v_fmac_f16_e32 v182, v42, v22
	v_fmac_f16_e32 v186, v86, v23
	v_fma_f16 v123, v58, v21, -v16
	v_mul_f16_sdwa v16, v42, v22 dst_sel:DWORD dst_unused:UNUSED_PAD src0_sel:DWORD src1_sel:WORD_1
	v_fma_f16 v181, v45, v22, -v16
	v_mul_f16_sdwa v16, v86, v23 dst_sel:DWORD dst_unused:UNUSED_PAD src0_sel:DWORD src1_sel:WORD_1
	v_fma_f16 v185, v43, v23, -v16
	global_load_dwordx4 v[16:19], v112, s[2:3] offset:48
	s_waitcnt vmcnt(0)
	v_mul_f16_sdwa v32, v88, v16 dst_sel:DWORD dst_unused:UNUSED_PAD src0_sel:DWORD src1_sel:WORD_1
	v_mul_f16_sdwa v194, v10, v17 dst_sel:DWORD dst_unused:UNUSED_PAD src0_sel:DWORD src1_sel:WORD_1
	;; [unrolled: 1-line block ×5, first 2 shown]
	v_fma_f16 v189, v56, v16, -v32
	v_mul_f16_sdwa v32, v89, v17 dst_sel:DWORD dst_unused:UNUSED_PAD src0_sel:DWORD src1_sel:WORD_1
	v_fmac_f16_e32 v194, v89, v17
	v_fmac_f16_e32 v198, v90, v18
	;; [unrolled: 1-line block ×4, first 2 shown]
	v_fma_f16 v193, v10, v17, -v32
	v_mul_f16_sdwa v10, v90, v18 dst_sel:DWORD dst_unused:UNUSED_PAD src0_sel:DWORD src1_sel:WORD_1
	v_sub_f16_e32 v140, v199, v200
	v_fma_f16 v197, v8, v18, -v10
	v_mul_f16_sdwa v8, v92, v19 dst_sel:DWORD dst_unused:UNUSED_PAD src0_sel:DWORD src1_sel:WORD_1
	v_mul_f16_e32 v210, 0xbb29, v140
	v_mul_f16_e32 v214, 0xbbf7, v140
	;; [unrolled: 1-line block ×3, first 2 shown]
	v_fma_f16 v127, v0, v19, -v8
	v_and_b32_e32 v0, 0xff, v72
	v_mul_f16_e32 v222, 0xba62, v140
	v_mul_f16_e32 v226, 0xb836, v140
	v_add_f16_e32 v128, v208, v127
	v_mul_lo_u16 v0, v0, 37
	v_fma_f16 v211, v128, 0x3722, -v210
	v_lshrrev_b16 v0, 8, v0
	v_fmac_f16_e32 v210, 0x3722, v128
	v_fma_f16 v215, v128, 0x2de8, -v214
	v_fmac_f16_e32 v214, 0x2de8, v128
	v_fma_f16 v219, v128, 0xb461, -v218
	v_sub_nc_u16 v8, v72, v0
	v_fmac_f16_e32 v218, 0xb461, v128
	v_fma_f16 v223, v128, 0xb8d2, -v222
	v_fmac_f16_e32 v222, 0xb8d2, v128
	v_fma_f16 v227, v128, 0xbacd, -v226
	v_lshrrev_b16 v8, 1, v8
	v_fmac_f16_e32 v226, 0xbacd, v128
	v_add_f16_e32 v211, v50, v211
	v_add_f16_e32 v210, v50, v210
	;; [unrolled: 1-line block ×3, first 2 shown]
	v_and_b32_e32 v8, 0x7f, v8
	v_add_f16_e32 v214, v50, v214
	v_add_f16_e32 v219, v50, v219
	;; [unrolled: 1-line block ×4, first 2 shown]
	v_add_nc_u16 v0, v8, v0
	v_add_f16_e32 v222, v50, v222
	v_add_f16_e32 v227, v50, v227
	;; [unrolled: 1-line block ×3, first 2 shown]
	v_lshrrev_b16 v113, 2, v0
	v_mul_lo_u16 v0, v113, 7
	v_sub_nc_u16 v112, v72, v0
	v_lshlrev_b32_sdwa v0, v119, v112 dst_sel:DWORD dst_unused:UNUSED_PAD src0_sel:DWORD src1_sel:BYTE_0
	global_load_dwordx4 v[40:43], v0, s[2:3]
	s_waitcnt vmcnt(0)
	v_mul_f16_sdwa v8, v85, v40 dst_sel:DWORD dst_unused:UNUSED_PAD src0_sel:DWORD src1_sel:WORD_1
	v_mul_f16_sdwa v177, v39, v40 dst_sel:DWORD dst_unused:UNUSED_PAD src0_sel:DWORD src1_sel:WORD_1
	;; [unrolled: 1-line block ×5, first 2 shown]
	v_fma_f16 v202, v39, v40, -v8
	v_mul_f16_sdwa v8, v84, v41 dst_sel:DWORD dst_unused:UNUSED_PAD src0_sel:DWORD src1_sel:WORD_1
	v_fmac_f16_e32 v177, v85, v40
	v_fmac_f16_e32 v168, v82, v42
	v_fmac_f16_e32 v166, v81, v43
	v_fmac_f16_e32 v170, v84, v41
	v_fma_f16 v169, v37, v41, -v8
	global_load_dwordx4 v[36:39], v0, s[2:3] offset:16
	v_mul_f16_sdwa v8, v82, v42 dst_sel:DWORD dst_unused:UNUSED_PAD src0_sel:DWORD src1_sel:WORD_1
	v_fma_f16 v167, v69, v42, -v8
	v_mul_f16_sdwa v8, v81, v43 dst_sel:DWORD dst_unused:UNUSED_PAD src0_sel:DWORD src1_sel:WORD_1
	v_fma_f16 v119, v67, v43, -v8
	s_waitcnt vmcnt(0)
	v_mul_f16_sdwa v8, v80, v36 dst_sel:DWORD dst_unused:UNUSED_PAD src0_sel:DWORD src1_sel:WORD_1
	v_mul_f16_sdwa v86, v63, v37 dst_sel:DWORD dst_unused:UNUSED_PAD src0_sel:DWORD src1_sel:WORD_1
	v_mul_f16_sdwa v82, v35, v38 dst_sel:DWORD dst_unused:UNUSED_PAD src0_sel:DWORD src1_sel:WORD_1
	v_mul_f16_sdwa v90, v65, v36 dst_sel:DWORD dst_unused:UNUSED_PAD src0_sel:DWORD src1_sel:WORD_1
	v_fma_f16 v89, v65, v36, -v8
	v_mul_f16_sdwa v8, v78, v37 dst_sel:DWORD dst_unused:UNUSED_PAD src0_sel:DWORD src1_sel:WORD_1
	v_fmac_f16_e32 v86, v78, v37
	v_fmac_f16_e32 v82, v77, v38
	v_mul_f16_sdwa v78, v33, v39 dst_sel:DWORD dst_unused:UNUSED_PAD src0_sel:DWORD src1_sel:WORD_1
	v_fmac_f16_e32 v90, v80, v36
	v_fma_f16 v85, v63, v37, -v8
	v_mul_f16_sdwa v8, v77, v38 dst_sel:DWORD dst_unused:UNUSED_PAD src0_sel:DWORD src1_sel:WORD_1
	v_fmac_f16_e32 v78, v79, v39
	v_fma_f16 v81, v35, v38, -v8
	v_mul_f16_sdwa v8, v79, v39 dst_sel:DWORD dst_unused:UNUSED_PAD src0_sel:DWORD src1_sel:WORD_1
	v_fma_f16 v77, v33, v39, -v8
	global_load_dwordx4 v[32:35], v0, s[2:3] offset:32
	s_waitcnt vmcnt(0)
	v_mul_f16_sdwa v8, v83, v32 dst_sel:DWORD dst_unused:UNUSED_PAD src0_sel:DWORD src1_sel:WORD_1
	v_mul_f16_sdwa v80, v61, v32 dst_sel:DWORD dst_unused:UNUSED_PAD src0_sel:DWORD src1_sel:WORD_1
	;; [unrolled: 1-line block ×5, first 2 shown]
	v_fma_f16 v79, v61, v32, -v8
	v_mul_f16_sdwa v8, v87, v33 dst_sel:DWORD dst_unused:UNUSED_PAD src0_sel:DWORD src1_sel:WORD_1
	v_fmac_f16_e32 v80, v83, v32
	v_fmac_f16_e32 v84, v87, v33
	v_fmac_f16_e32 v88, v91, v34
	v_fmac_f16_e32 v92, v47, v35
	v_fma_f16 v83, v59, v33, -v8
	v_mul_f16_sdwa v8, v91, v34 dst_sel:DWORD dst_unused:UNUSED_PAD src0_sel:DWORD src1_sel:WORD_1
	v_fma_f16 v87, v46, v34, -v8
	v_mul_f16_sdwa v8, v47, v35 dst_sel:DWORD dst_unused:UNUSED_PAD src0_sel:DWORD src1_sel:WORD_1
	v_fma_f16 v91, v44, v35, -v8
	global_load_dwordx4 v[44:47], v0, s[2:3] offset:48
	s_waitcnt vmcnt(0)
	v_mul_f16_sdwa v0, v111, v44 dst_sel:DWORD dst_unused:UNUSED_PAD src0_sel:DWORD src1_sel:WORD_1
	v_mul_f16_sdwa v178, v1, v47 dst_sel:DWORD dst_unused:UNUSED_PAD src0_sel:DWORD src1_sel:WORD_1
	v_mul_f16_sdwa v176, v9, v46 dst_sel:DWORD dst_unused:UNUSED_PAD src0_sel:DWORD src1_sel:WORD_1
	v_mul_f16_sdwa v174, v11, v45 dst_sel:DWORD dst_unused:UNUSED_PAD src0_sel:DWORD src1_sel:WORD_1
	v_mul_f16_sdwa v172, v57, v44 dst_sel:DWORD dst_unused:UNUSED_PAD src0_sel:DWORD src1_sel:WORD_1
	v_fma_f16 v171, v57, v44, -v0
	v_mul_f16_sdwa v0, v110, v45 dst_sel:DWORD dst_unused:UNUSED_PAD src0_sel:DWORD src1_sel:WORD_1
	v_fmac_f16_e32 v176, v107, v46
	v_fmac_f16_e32 v178, v98, v47
	;; [unrolled: 1-line block ×4, first 2 shown]
	v_fma_f16 v173, v11, v45, -v0
	v_mul_f16_sdwa v0, v107, v46 dst_sel:DWORD dst_unused:UNUSED_PAD src0_sel:DWORD src1_sel:WORD_1
	v_fma_f16 v175, v9, v46, -v0
	v_mul_f16_sdwa v0, v98, v47 dst_sel:DWORD dst_unused:UNUSED_PAD src0_sel:DWORD src1_sel:WORD_1
	v_fma_f16 v203, v1, v47, -v0
	v_and_b32_e32 v0, 0xff, v70
	v_mul_lo_u16 v0, v0, 37
	v_lshrrev_b16 v0, 8, v0
	v_sub_nc_u16 v1, v70, v0
	v_lshrrev_b16 v1, 1, v1
	v_and_b32_e32 v1, 0x7f, v1
	v_add_nc_u16 v0, v1, v0
	v_lshrrev_b16 v0, 2, v0
	v_mul_lo_u16 v0, v0, 7
	v_sub_nc_u16 v107, v70, v0
	v_lshlrev_b16 v0, 4, v107
	v_and_b32_e32 v0, 0xf0, v0
	v_lshlrev_b32_e32 v59, 2, v0
	global_load_dwordx4 v[8:11], v59, s[2:3]
	s_waitcnt vmcnt(0)
	v_mul_f16_sdwa v0, v109, v8 dst_sel:DWORD dst_unused:UNUSED_PAD src0_sel:DWORD src1_sel:WORD_1
	v_mul_f16_sdwa v58, v2, v9 dst_sel:DWORD dst_unused:UNUSED_PAD src0_sel:DWORD src1_sel:WORD_1
	;; [unrolled: 1-line block ×5, first 2 shown]
	v_fma_f16 v98, v49, v8, -v0
	v_mul_f16_sdwa v0, v106, v9 dst_sel:DWORD dst_unused:UNUSED_PAD src0_sel:DWORD src1_sel:WORD_1
	v_fmac_f16_e32 v61, v97, v10
	v_fmac_f16_e32 v65, v95, v11
	;; [unrolled: 1-line block ×4, first 2 shown]
	v_fma_f16 v57, v2, v9, -v0
	v_mul_f16_sdwa v0, v97, v10 dst_sel:DWORD dst_unused:UNUSED_PAD src0_sel:DWORD src1_sel:WORD_1
	v_fma_f16 v60, v3, v10, -v0
	v_mul_f16_sdwa v0, v95, v11 dst_sel:DWORD dst_unused:UNUSED_PAD src0_sel:DWORD src1_sel:WORD_1
	v_fma_f16 v64, v6, v11, -v0
	global_load_dwordx4 v[0:3], v59, s[2:3] offset:16
	s_waitcnt vmcnt(0)
	v_mul_f16_sdwa v6, v94, v0 dst_sel:DWORD dst_unused:UNUSED_PAD src0_sel:DWORD src1_sel:WORD_1
	v_mul_f16_sdwa v69, v7, v0 dst_sel:DWORD dst_unused:UNUSED_PAD src0_sel:DWORD src1_sel:WORD_1
	;; [unrolled: 1-line block ×5, first 2 shown]
	v_fma_f16 v68, v7, v0, -v6
	v_mul_f16_sdwa v6, v96, v1 dst_sel:DWORD dst_unused:UNUSED_PAD src0_sel:DWORD src1_sel:WORD_1
	v_fmac_f16_e32 v69, v94, v0
	v_fmac_f16_e32 v95, v96, v1
	;; [unrolled: 1-line block ×4, first 2 shown]
	v_fma_f16 v94, v4, v1, -v6
	v_mul_f16_sdwa v4, v99, v2 dst_sel:DWORD dst_unused:UNUSED_PAD src0_sel:DWORD src1_sel:WORD_1
	v_fma_f16 v96, v5, v2, -v4
	v_mul_f16_sdwa v4, v108, v3 dst_sel:DWORD dst_unused:UNUSED_PAD src0_sel:DWORD src1_sel:WORD_1
	v_fma_f16 v99, v12, v3, -v4
	global_load_dwordx4 v[4:7], v59, s[2:3] offset:32
	s_waitcnt vmcnt(0)
	v_mul_f16_sdwa v12, v93, v4 dst_sel:DWORD dst_unused:UNUSED_PAD src0_sel:DWORD src1_sel:WORD_1
	v_mul_f16_sdwa v111, v14, v5 dst_sel:DWORD dst_unused:UNUSED_PAD src0_sel:DWORD src1_sel:WORD_1
	;; [unrolled: 1-line block ×4, first 2 shown]
	v_fma_f16 v108, v13, v4, -v12
	v_mul_f16_sdwa v12, v75, v5 dst_sel:DWORD dst_unused:UNUSED_PAD src0_sel:DWORD src1_sel:WORD_1
	v_fmac_f16_e32 v111, v75, v5
	v_fmac_f16_e32 v109, v93, v4
	v_mul_f16_sdwa v93, v15, v6 dst_sel:DWORD dst_unused:UNUSED_PAD src0_sel:DWORD src1_sel:WORD_1
	v_fmac_f16_e32 v67, v206, v7
	v_fma_f16 v110, v14, v5, -v12
	v_mul_f16_sdwa v12, v207, v6 dst_sel:DWORD dst_unused:UNUSED_PAD src0_sel:DWORD src1_sel:WORD_1
	v_sub_f16_e32 v244, v97, v111
	v_fmac_f16_e32 v93, v207, v6
	v_fma_f16 v75, v15, v6, -v12
	v_mul_f16_sdwa v12, v206, v7 dst_sel:DWORD dst_unused:UNUSED_PAD src0_sel:DWORD src1_sel:WORD_1
	v_mul_f16_e32 v206, 0xb964, v140
	v_fma_f16 v66, v54, v7, -v12
	global_load_dwordx4 v[12:15], v59, s[2:3] offset:48
	v_fma_f16 v207, v128, 0x39e9, -v206
	v_fmac_f16_e32 v206, 0x39e9, v128
	s_waitcnt vmcnt(0)
	s_barrier
	buffer_gl0_inv
	v_add_f16_e32 v207, v50, v207
	v_add_f16_e32 v206, v50, v206
	v_mul_f16_sdwa v49, v205, v12 dst_sel:DWORD dst_unused:UNUSED_PAD src0_sel:DWORD src1_sel:WORD_1
	v_mul_f16_sdwa v63, v55, v12 dst_sel:DWORD dst_unused:UNUSED_PAD src0_sel:DWORD src1_sel:WORD_1
	;; [unrolled: 1-line block ×3, first 2 shown]
	v_fma_f16 v62, v55, v12, -v49
	v_mul_f16_sdwa v49, v204, v13 dst_sel:DWORD dst_unused:UNUSED_PAD src0_sel:DWORD src1_sel:WORD_1
	v_fmac_f16_e32 v59, v204, v13
	v_fmac_f16_e32 v63, v205, v12
	v_fma_f16 v55, v52, v13, -v49
	v_mul_f16_sdwa v49, v126, v14 dst_sel:DWORD dst_unused:UNUSED_PAD src0_sel:DWORD src1_sel:WORD_1
	v_mul_f16_sdwa v52, v124, v15 dst_sel:DWORD dst_unused:UNUSED_PAD src0_sel:DWORD src1_sel:WORD_1
	v_fma_f16 v54, v53, v14, -v49
	v_mul_f16_sdwa v49, v201, v15 dst_sel:DWORD dst_unused:UNUSED_PAD src0_sel:DWORD src1_sel:WORD_1
	v_mul_f16_sdwa v53, v53, v14 dst_sel:DWORD dst_unused:UNUSED_PAD src0_sel:DWORD src1_sel:WORD_1
	v_fmac_f16_e32 v52, v201, v15
	v_add_f16_e32 v201, v199, v200
	v_fma_f16 v49, v124, v15, -v49
	v_add_f16_e32 v124, v50, v208
	v_fmac_f16_e32 v53, v126, v14
	v_add_f16_sdwa v126, v50, v199 dst_sel:DWORD dst_unused:UNUSED_PAD src0_sel:WORD_1 src1_sel:DWORD
	v_mul_f16_e32 v199, 0xb5c8, v140
	v_mul_f16_e32 v140, 0xb1e1, v140
	v_add_f16_e32 v124, v124, v195
	v_add_f16_e32 v126, v126, v196
	v_fma_f16 v230, v128, 0xbbdd, -v140
	v_add_f16_e32 v124, v124, v191
	v_fmac_f16_e32 v140, 0xbbdd, v128
	v_add_f16_e32 v126, v126, v192
	v_add_f16_e32 v230, v50, v230
	;; [unrolled: 1-line block ×27, first 2 shown]
	v_sub_f16_e32 v127, v208, v127
	v_add_f16_e32 v126, v126, v200
	v_fma_f16 v200, v128, 0x3b76, -v199
	v_fmac_f16_e32 v199, 0x3b76, v128
	v_add_f16_e32 v128, v50, v140
	v_mul_f16_e32 v204, 0xb5c8, v127
	v_mul_f16_e32 v208, 0xb964, v127
	;; [unrolled: 1-line block ×8, first 2 shown]
	v_fmamk_f16 v205, v201, 0x3b76, v204
	v_fma_f16 v204, v201, 0x3b76, -v204
	v_fmamk_f16 v209, v201, 0x39e9, v208
	v_fma_f16 v208, v201, 0x39e9, -v208
	;; [unrolled: 2-line block ×8, first 2 shown]
	v_add_f16_e32 v140, v196, v198
	v_sub_f16_e32 v196, v196, v198
	v_add_f16_e32 v200, v50, v200
	v_add_f16_sdwa v205, v50, v205 dst_sel:DWORD dst_unused:UNUSED_PAD src0_sel:WORD_1 src1_sel:DWORD
	v_add_f16_e32 v199, v50, v199
	v_add_f16_sdwa v204, v50, v204 dst_sel:DWORD dst_unused:UNUSED_PAD src0_sel:WORD_1 src1_sel:DWORD
	v_add_f16_sdwa v209, v50, v209 dst_sel:DWORD dst_unused:UNUSED_PAD src0_sel:WORD_1 src1_sel:DWORD
	;; [unrolled: 1-line block ×15, first 2 shown]
	v_add_f16_e32 v127, v195, v197
	v_sub_f16_e32 v195, v195, v197
	v_mul_f16_e32 v197, 0xb964, v196
	v_fma_f16 v198, v127, 0x39e9, -v197
	v_fmac_f16_e32 v197, 0x39e9, v127
	v_add_f16_e32 v198, v198, v200
	v_mul_f16_e32 v200, 0xb964, v195
	v_add_f16_e32 v197, v197, v199
	v_fmamk_f16 v201, v140, 0x39e9, v200
	v_fma_f16 v199, v140, 0x39e9, -v200
	v_mul_f16_e32 v200, 0xbbf7, v196
	v_add_f16_e32 v201, v201, v205
	v_add_f16_e32 v199, v199, v204
	v_fma_f16 v204, v127, 0x2de8, -v200
	v_mul_f16_e32 v205, 0xbbf7, v195
	v_fmac_f16_e32 v200, 0x2de8, v127
	v_add_f16_e32 v204, v204, v207
	v_fmamk_f16 v207, v140, 0x2de8, v205
	v_add_f16_e32 v200, v200, v206
	v_fma_f16 v205, v140, 0x2de8, -v205
	v_mul_f16_e32 v206, 0xba62, v196
	v_add_f16_e32 v207, v207, v209
	v_mul_f16_e32 v209, 0xba62, v195
	v_add_f16_e32 v205, v205, v208
	v_fma_f16 v208, v127, 0xb8d2, -v206
	v_fmac_f16_e32 v206, 0xb8d2, v127
	v_add_f16_e32 v208, v208, v211
	v_fmamk_f16 v211, v140, 0xb8d2, v209
	v_add_f16_e32 v206, v206, v210
	v_fma_f16 v209, v140, 0xb8d2, -v209
	v_mul_f16_e32 v210, 0xb1e1, v196
	v_add_f16_e32 v211, v211, v213
	v_mul_f16_e32 v213, 0xb1e1, v195
	v_add_f16_e32 v209, v209, v212
	v_fma_f16 v212, v127, 0xbbdd, -v210
	;; [unrolled: 10-line block ×4, first 2 shown]
	v_fmac_f16_e32 v218, 0xb461, v127
	v_add_f16_e32 v220, v220, v223
	v_fmamk_f16 v223, v140, 0xb461, v221
	v_add_f16_e32 v218, v218, v222
	v_fma_f16 v221, v140, 0xb461, -v221
	v_mul_f16_e32 v222, 0x3b29, v196
	v_mul_f16_e32 v196, 0x35c8, v196
	v_add_f16_e32 v223, v223, v225
	v_mul_f16_e32 v225, 0x3b29, v195
	v_add_f16_e32 v221, v221, v224
	v_fma_f16 v224, v127, 0x3722, -v222
	v_fmac_f16_e32 v222, 0x3722, v127
	v_mul_f16_e32 v195, 0x35c8, v195
	v_add_f16_e32 v224, v224, v227
	v_fmamk_f16 v227, v140, 0x3722, v225
	v_add_f16_e32 v222, v222, v226
	v_fma_f16 v225, v140, 0x3722, -v225
	v_fma_f16 v226, v127, 0x3b76, -v196
	v_fmac_f16_e32 v196, 0x3b76, v127
	v_add_f16_e32 v227, v227, v229
	v_add_f16_e32 v225, v225, v228
	v_fmamk_f16 v228, v140, 0x3b76, v195
	v_add_f16_e32 v127, v196, v128
	v_fma_f16 v128, v140, 0x3b76, -v195
	v_add_f16_e32 v140, v192, v194
	v_sub_f16_e32 v192, v192, v194
	v_add_f16_e32 v226, v226, v230
	v_add_f16_e32 v228, v228, v231
	;; [unrolled: 1-line block ×4, first 2 shown]
	v_sub_f16_e32 v191, v191, v193
	v_mul_f16_e32 v193, 0xbb29, v192
	v_mul_f16_e32 v195, 0xbb29, v191
	v_fma_f16 v194, v128, 0x3722, -v193
	v_fmac_f16_e32 v193, 0x3722, v128
	v_fmamk_f16 v196, v140, 0x3722, v195
	v_fma_f16 v195, v140, 0x3722, -v195
	v_add_f16_e32 v193, v193, v197
	v_mul_f16_e32 v197, 0xba62, v192
	v_add_f16_e32 v194, v194, v198
	v_add_f16_e32 v196, v196, v201
	v_add_f16_e32 v195, v195, v199
	v_mul_f16_e32 v199, 0xba62, v191
	v_fma_f16 v198, v128, 0xb8d2, -v197
	v_fmac_f16_e32 v197, 0xb8d2, v128
	v_fmamk_f16 v201, v140, 0xb8d2, v199
	v_fma_f16 v199, v140, 0xb8d2, -v199
	v_add_f16_e32 v197, v197, v200
	v_mul_f16_e32 v200, 0x31e1, v192
	v_add_f16_e32 v198, v198, v204
	v_add_f16_e32 v201, v201, v207
	v_add_f16_e32 v199, v199, v205
	v_mul_f16_e32 v205, 0x31e1, v191
	v_fma_f16 v204, v128, 0xbbdd, -v200
	v_fmac_f16_e32 v200, 0xbbdd, v128
	v_fmamk_f16 v207, v140, 0xbbdd, v205
	v_fma_f16 v205, v140, 0xbbdd, -v205
	v_add_f16_e32 v200, v200, v206
	v_mul_f16_e32 v206, 0x3bb2, v192
	v_add_f16_e32 v204, v204, v208
	v_add_f16_e32 v207, v207, v211
	v_add_f16_e32 v205, v205, v209
	v_mul_f16_e32 v209, 0x3bb2, v191
	v_fma_f16 v208, v128, 0xb461, -v206
	v_fmac_f16_e32 v206, 0xb461, v128
	v_fmamk_f16 v211, v140, 0xb461, v209
	v_fma_f16 v209, v140, 0xb461, -v209
	v_add_f16_e32 v206, v206, v210
	v_mul_f16_e32 v210, 0x3964, v192
	v_add_f16_e32 v208, v208, v212
	v_add_f16_e32 v211, v211, v215
	v_add_f16_e32 v209, v209, v213
	v_mul_f16_e32 v213, 0x3964, v191
	v_fma_f16 v212, v128, 0x39e9, -v210
	v_fmac_f16_e32 v210, 0x39e9, v128
	v_fmamk_f16 v215, v140, 0x39e9, v213
	v_fma_f16 v213, v140, 0x39e9, -v213
	v_add_f16_e32 v210, v210, v214
	v_mul_f16_e32 v214, 0xb5c8, v192
	v_add_f16_e32 v212, v212, v216
	v_add_f16_e32 v215, v215, v219
	v_add_f16_e32 v213, v213, v217
	v_mul_f16_e32 v217, 0xb5c8, v191
	v_fma_f16 v216, v128, 0x3b76, -v214
	v_fmac_f16_e32 v214, 0x3b76, v128
	v_fmamk_f16 v219, v140, 0x3b76, v217
	v_fma_f16 v217, v140, 0x3b76, -v217
	v_add_f16_e32 v214, v214, v218
	v_mul_f16_e32 v218, 0xbbf7, v192
	v_add_f16_e32 v216, v216, v220
	v_mul_f16_e32 v192, 0xb836, v192
	;; [unrolled: 2-line block ×3, first 2 shown]
	v_fma_f16 v220, v128, 0x2de8, -v218
	v_fmac_f16_e32 v218, 0x2de8, v128
	v_mul_f16_e32 v191, 0xb836, v191
	v_add_f16_e32 v219, v219, v223
	v_fmamk_f16 v223, v140, 0x2de8, v221
	v_add_f16_e32 v220, v220, v224
	v_add_f16_e32 v218, v218, v222
	v_fma_f16 v221, v140, 0x2de8, -v221
	v_fma_f16 v222, v128, 0xbacd, -v192
	v_fmamk_f16 v224, v140, 0xbacd, v191
	v_fmac_f16_e32 v192, 0xbacd, v128
	v_fma_f16 v128, v140, 0xbacd, -v191
	v_add_f16_e32 v140, v188, v190
	v_sub_f16_e32 v188, v188, v190
	v_add_f16_e32 v221, v221, v225
	v_add_f16_e32 v127, v192, v127
	v_add_f16_e32 v50, v128, v50
	v_add_f16_e32 v128, v187, v189
	v_sub_f16_e32 v187, v187, v189
	v_mul_f16_e32 v189, 0xbbf7, v188
	v_add_f16_e32 v222, v222, v226
	v_add_f16_e32 v223, v223, v227
	v_add_f16_e32 v224, v224, v228
	v_mul_f16_e32 v191, 0xbbf7, v187
	v_fma_f16 v190, v128, 0x2de8, -v189
	v_fmac_f16_e32 v189, 0x2de8, v128
	v_fmamk_f16 v192, v140, 0x2de8, v191
	v_fma_f16 v191, v140, 0x2de8, -v191
	v_add_f16_e32 v189, v189, v193
	v_mul_f16_e32 v193, 0xb1e1, v188
	v_add_f16_e32 v190, v190, v194
	v_add_f16_e32 v192, v192, v196
	v_add_f16_e32 v191, v191, v195
	v_mul_f16_e32 v195, 0xb1e1, v187
	v_fma_f16 v194, v128, 0xbbdd, -v193
	v_fmac_f16_e32 v193, 0xbbdd, v128
	v_fmamk_f16 v196, v140, 0xbbdd, v195
	v_fma_f16 v195, v140, 0xbbdd, -v195
	v_add_f16_e32 v193, v193, v197
	;; [unrolled: 10-line block ×6, first 2 shown]
	v_mul_f16_e32 v214, 0x3a62, v188
	v_add_f16_e32 v212, v212, v216
	v_mul_f16_e32 v188, 0x3964, v188
	v_add_f16_e32 v213, v213, v217
	v_mul_f16_e32 v217, 0x3a62, v187
	v_fma_f16 v216, v128, 0xb8d2, -v214
	v_fmac_f16_e32 v214, 0xb8d2, v128
	v_mul_f16_e32 v187, 0x3964, v187
	v_add_f16_e32 v215, v215, v219
	v_fmamk_f16 v219, v140, 0xb8d2, v217
	v_add_f16_e32 v216, v216, v220
	v_add_f16_e32 v214, v214, v218
	v_fma_f16 v217, v140, 0xb8d2, -v217
	v_fma_f16 v218, v128, 0x39e9, -v188
	v_fmamk_f16 v220, v140, 0x39e9, v187
	v_fmac_f16_e32 v188, 0x39e9, v128
	v_fma_f16 v128, v140, 0x39e9, -v187
	v_add_f16_e32 v140, v184, v186
	v_sub_f16_e32 v184, v184, v186
	v_add_f16_e32 v217, v217, v221
	v_add_f16_e32 v127, v188, v127
	;; [unrolled: 1-line block ×4, first 2 shown]
	v_sub_f16_e32 v183, v183, v185
	v_mul_f16_e32 v185, 0xbbb2, v184
	v_add_f16_e32 v218, v218, v222
	v_add_f16_e32 v219, v219, v223
	v_add_f16_e32 v220, v220, v224
	v_mul_f16_e32 v187, 0xbbb2, v183
	v_fma_f16 v186, v128, 0xb461, -v185
	v_fmac_f16_e32 v185, 0xb461, v128
	v_fmamk_f16 v188, v140, 0xb461, v187
	v_fma_f16 v187, v140, 0xb461, -v187
	v_add_f16_e32 v185, v185, v189
	v_mul_f16_e32 v189, 0x3836, v184
	v_add_f16_e32 v186, v186, v190
	v_add_f16_e32 v188, v188, v192
	v_add_f16_e32 v187, v187, v191
	v_mul_f16_e32 v191, 0x3836, v183
	v_fma_f16 v190, v128, 0xbacd, -v189
	v_fmac_f16_e32 v189, 0xbacd, v128
	v_fmamk_f16 v192, v140, 0xbacd, v191
	v_fma_f16 v191, v140, 0xbacd, -v191
	v_add_f16_e32 v189, v189, v193
	v_mul_f16_e32 v193, 0x3964, v184
	v_add_f16_e32 v190, v190, v194
	v_add_f16_e32 v192, v192, v196
	v_add_f16_e32 v191, v191, v195
	v_mul_f16_e32 v195, 0x3964, v183
	v_fma_f16 v194, v128, 0x39e9, -v193
	v_fmac_f16_e32 v193, 0x39e9, v128
	v_fmamk_f16 v196, v140, 0x39e9, v195
	v_fma_f16 v195, v140, 0x39e9, -v195
	v_add_f16_e32 v193, v193, v197
	v_mul_f16_e32 v197, 0xbb29, v184
	v_add_f16_e32 v194, v194, v198
	v_add_f16_e32 v196, v196, v201
	v_add_f16_e32 v195, v195, v199
	v_mul_f16_e32 v199, 0xbb29, v183
	v_fma_f16 v198, v128, 0x3722, -v197
	v_fmac_f16_e32 v197, 0x3722, v128
	v_fmamk_f16 v201, v140, 0x3722, v199
	v_fma_f16 v199, v140, 0x3722, -v199
	v_add_f16_e32 v197, v197, v200
	v_mul_f16_e32 v200, 0xb1e1, v184
	v_add_f16_e32 v198, v198, v204
	v_add_f16_e32 v201, v201, v207
	v_add_f16_e32 v199, v199, v205
	v_mul_f16_e32 v205, 0xb1e1, v183
	v_fma_f16 v204, v128, 0xbbdd, -v200
	v_fmac_f16_e32 v200, 0xbbdd, v128
	v_fmamk_f16 v207, v140, 0xbbdd, v205
	v_fma_f16 v205, v140, 0xbbdd, -v205
	v_add_f16_e32 v200, v200, v206
	v_mul_f16_e32 v206, 0x3bf7, v184
	v_add_f16_e32 v204, v204, v208
	v_add_f16_e32 v207, v207, v211
	v_add_f16_e32 v205, v205, v209
	v_mul_f16_e32 v209, 0x3bf7, v183
	v_fma_f16 v208, v128, 0x2de8, -v206
	v_fmac_f16_e32 v206, 0x2de8, v128
	v_fmamk_f16 v211, v140, 0x2de8, v209
	v_fma_f16 v209, v140, 0x2de8, -v209
	v_add_f16_e32 v206, v206, v210
	v_mul_f16_e32 v210, 0xb5c8, v184
	v_add_f16_e32 v208, v208, v212
	v_mul_f16_e32 v184, 0xba62, v184
	v_add_f16_e32 v209, v209, v213
	v_mul_f16_e32 v213, 0xb5c8, v183
	v_fma_f16 v212, v128, 0x3b76, -v210
	v_fmac_f16_e32 v210, 0x3b76, v128
	v_mul_f16_e32 v183, 0xba62, v183
	v_add_f16_e32 v211, v211, v215
	v_fmamk_f16 v215, v140, 0x3b76, v213
	v_add_f16_e32 v212, v212, v216
	v_add_f16_e32 v210, v210, v214
	v_fma_f16 v213, v140, 0x3b76, -v213
	v_fma_f16 v214, v128, 0xb8d2, -v184
	v_fmamk_f16 v216, v140, 0xb8d2, v183
	v_fmac_f16_e32 v184, 0xb8d2, v128
	v_fma_f16 v128, v140, 0xb8d2, -v183
	v_add_f16_e32 v140, v180, v182
	v_sub_f16_e32 v180, v180, v182
	v_add_f16_e32 v213, v213, v217
	v_add_f16_e32 v127, v184, v127
	;; [unrolled: 1-line block ×4, first 2 shown]
	v_sub_f16_e32 v179, v179, v181
	v_mul_f16_e32 v181, 0xba62, v180
	v_add_f16_e32 v214, v214, v218
	v_add_f16_e32 v215, v215, v219
	;; [unrolled: 1-line block ×3, first 2 shown]
	v_mul_f16_e32 v183, 0xba62, v179
	v_fma_f16 v182, v128, 0xb8d2, -v181
	v_fmac_f16_e32 v181, 0xb8d2, v128
	v_sub_f16_e32 v117, v117, v120
	v_add_f16_e32 v216, v216, v220
	v_fmamk_f16 v184, v140, 0xb8d2, v183
	v_fma_f16 v183, v140, 0xb8d2, -v183
	v_add_f16_e32 v181, v181, v185
	v_mul_f16_e32 v185, 0x3bb2, v180
	v_add_f16_e32 v182, v182, v186
	v_add_f16_e32 v184, v184, v188
	v_add_f16_e32 v183, v183, v187
	v_mul_f16_e32 v187, 0x3bb2, v179
	v_fma_f16 v186, v128, 0xb461, -v185
	v_fmac_f16_e32 v185, 0xb461, v128
	v_fmamk_f16 v188, v140, 0xb461, v187
	v_fma_f16 v187, v140, 0xb461, -v187
	v_add_f16_e32 v185, v185, v189
	v_mul_f16_e32 v189, 0xb5c8, v180
	v_add_f16_e32 v186, v186, v190
	v_add_f16_e32 v188, v188, v192
	v_add_f16_e32 v187, v187, v191
	v_mul_f16_e32 v191, 0xb5c8, v179
	v_fma_f16 v190, v128, 0x3b76, -v189
	v_fmac_f16_e32 v189, 0x3b76, v128
	;; [unrolled: 10-line block ×5, first 2 shown]
	v_fmamk_f16 v207, v140, 0x39e9, v205
	v_fma_f16 v205, v140, 0x39e9, -v205
	v_add_f16_e32 v200, v200, v206
	v_mul_f16_e32 v206, 0xb1e1, v180
	v_add_f16_e32 v204, v204, v208
	v_mul_f16_e32 v180, 0x3b29, v180
	;; [unrolled: 2-line block ×3, first 2 shown]
	v_fma_f16 v208, v128, 0xbbdd, -v206
	v_fmac_f16_e32 v206, 0xbbdd, v128
	v_mul_f16_e32 v179, 0x3b29, v179
	v_add_f16_e32 v207, v207, v211
	v_fmamk_f16 v211, v140, 0xbbdd, v209
	v_add_f16_e32 v208, v208, v212
	v_add_f16_e32 v206, v206, v210
	v_fma_f16 v209, v140, 0xbbdd, -v209
	v_fma_f16 v210, v128, 0x3722, -v180
	v_fmamk_f16 v212, v140, 0x3722, v179
	v_fmac_f16_e32 v180, 0x3722, v128
	v_fma_f16 v128, v140, 0x3722, -v179
	v_add_f16_e32 v140, v122, v125
	v_sub_f16_e32 v122, v122, v125
	v_add_f16_e32 v209, v209, v213
	v_add_f16_e32 v127, v180, v127
	;; [unrolled: 1-line block ×4, first 2 shown]
	v_sub_f16_e32 v121, v121, v123
	v_mul_f16_e32 v123, 0xb836, v122
	v_add_f16_e32 v210, v210, v214
	v_add_f16_e32 v211, v211, v215
	;; [unrolled: 1-line block ×3, first 2 shown]
	v_mul_f16_e32 v179, 0xb836, v121
	v_fma_f16 v125, v128, 0xbacd, -v123
	v_fmac_f16_e32 v123, 0xbacd, v128
	v_fmamk_f16 v180, v140, 0xbacd, v179
	v_add_f16_e32 v125, v125, v182
	v_add_f16_e32 v123, v123, v181
	v_mul_f16_e32 v181, 0x3b29, v122
	v_fma_f16 v179, v140, 0xbacd, -v179
	v_add_f16_e32 v180, v180, v184
	v_fma_f16 v182, v128, 0x3722, -v181
	v_fmac_f16_e32 v181, 0x3722, v128
	v_add_f16_e32 v179, v179, v183
	v_mul_f16_e32 v183, 0x3b29, v121
	v_add_f16_e32 v182, v182, v186
	v_add_f16_e32 v181, v181, v185
	v_mul_f16_e32 v185, 0xbbf7, v122
	v_fmamk_f16 v184, v140, 0x3722, v183
	v_fma_f16 v183, v140, 0x3722, -v183
	v_fma_f16 v186, v128, 0x2de8, -v185
	v_fmac_f16_e32 v185, 0x2de8, v128
	v_add_f16_e32 v183, v183, v187
	v_mul_f16_e32 v187, 0xbbf7, v121
	v_add_f16_e32 v184, v184, v188
	v_add_f16_e32 v186, v186, v190
	v_add_f16_e32 v185, v185, v189
	v_mul_f16_e32 v189, 0x3a62, v122
	v_fmamk_f16 v188, v140, 0x2de8, v187
	v_fma_f16 v187, v140, 0x2de8, -v187
	v_fma_f16 v190, v128, 0xb8d2, -v189
	v_fmac_f16_e32 v189, 0xb8d2, v128
	v_add_f16_e32 v187, v187, v191
	v_mul_f16_e32 v191, 0x3a62, v121
	v_add_f16_e32 v188, v188, v192
	;; [unrolled: 10-line block ×3, first 2 shown]
	v_add_f16_e32 v194, v194, v198
	v_add_f16_e32 v193, v193, v197
	v_mul_f16_e32 v197, 0xb1e1, v122
	v_fmamk_f16 v196, v140, 0x3b76, v195
	v_fma_f16 v195, v140, 0x3b76, -v195
	v_fma_f16 v198, v128, 0xbbdd, -v197
	v_fmac_f16_e32 v197, 0xbbdd, v128
	v_add_f16_e32 v195, v195, v199
	v_add_f16_e32 v196, v196, v201
	;; [unrolled: 1-line block ×3, first 2 shown]
	v_mul_f16_e32 v198, 0xb1e1, v121
	v_add_f16_e32 v197, v197, v200
	v_fmamk_f16 v199, v140, 0xbbdd, v198
	v_fma_f16 v198, v140, 0xbbdd, -v198
	v_add_f16_e32 v207, v199, v207
	v_add_f16_e32 v205, v198, v205
	v_mul_f16_e32 v198, 0x3964, v122
	v_mul_f16_e32 v122, 0xbbb2, v122
	v_fma_f16 v199, v128, 0x39e9, -v198
	v_fmac_f16_e32 v198, 0x39e9, v128
	v_add_f16_e32 v208, v199, v208
	v_mul_f16_e32 v199, 0x3964, v121
	v_add_f16_e32 v206, v198, v206
	v_mul_f16_e32 v121, 0xbbb2, v121
	v_fma_f16 v198, v140, 0x39e9, -v199
	v_fmamk_f16 v200, v140, 0x39e9, v199
	v_add_f16_e32 v209, v198, v209
	v_fma_f16 v198, v128, 0xb461, -v122
	v_fmac_f16_e32 v122, 0xb461, v128
	v_add_f16_e32 v214, v200, v211
	v_add_f16_e32 v215, v198, v210
	v_fmamk_f16 v198, v140, 0xb461, v121
	v_fma_f16 v121, v140, 0xb461, -v121
	v_add_f16_e32 v140, v114, v118
	v_sub_f16_e32 v118, v114, v118
	v_add_f16_e32 v127, v122, v127
	v_add_f16_e32 v216, v198, v212
	;; [unrolled: 1-line block ×3, first 2 shown]
	v_mul_f16_e32 v50, 0xb1e1, v117
	v_fma_f16 v114, v140, 0xbbdd, -v50
	v_fmac_f16_e32 v50, 0xbbdd, v140
	v_add_f16_e32 v222, v114, v125
	v_mul_f16_e32 v114, 0xb1e1, v118
	v_add_f16_e32 v50, v50, v123
	v_fmamk_f16 v120, v217, 0xbbdd, v114
	v_fma_f16 v114, v217, 0xbbdd, -v114
	v_add_f16_e32 v223, v120, v180
	v_mul_f16_e32 v120, 0x35c8, v117
	v_add_f16_e32 v114, v114, v179
	v_fma_f16 v121, v140, 0x3b76, -v120
	v_fmac_f16_e32 v120, 0x3b76, v140
	v_pack_b32_f16 v50, v50, v114
	v_add_f16_e32 v210, v121, v182
	v_mul_f16_e32 v121, 0x35c8, v118
	v_add_f16_e32 v120, v120, v181
	v_fmamk_f16 v122, v217, 0x3b76, v121
	v_fma_f16 v121, v217, 0x3b76, -v121
	v_add_f16_e32 v211, v122, v184
	v_mul_f16_e32 v122, 0xb836, v117
	v_add_f16_e32 v121, v121, v183
	v_fma_f16 v123, v140, 0xbacd, -v122
	v_fmac_f16_e32 v122, 0xbacd, v140
	v_add_f16_e32 v212, v123, v186
	v_mul_f16_e32 v123, 0xb836, v118
	v_add_f16_e32 v122, v122, v185
	v_fmamk_f16 v125, v217, 0xbacd, v123
	v_fma_f16 v123, v217, 0xbacd, -v123
	v_add_f16_e32 v213, v125, v188
	v_mul_f16_e32 v125, 0x3964, v117
	v_add_f16_e32 v123, v123, v187
	v_fma_f16 v179, v140, 0x39e9, -v125
	v_fmac_f16_e32 v125, 0x39e9, v140
	v_add_f16_e32 v198, v179, v190
	v_mul_f16_e32 v179, 0x3964, v118
	v_add_f16_e32 v125, v125, v189
	v_fmamk_f16 v180, v217, 0x39e9, v179
	v_fma_f16 v179, v217, 0x39e9, -v179
	v_add_f16_e32 v199, v180, v192
	v_add_f16_e32 v183, v179, v191
	v_mul_f16_e32 v179, 0xba62, v117
	v_fma_f16 v180, v140, 0xb8d2, -v179
	v_fmac_f16_e32 v179, 0xb8d2, v140
	v_add_f16_e32 v200, v180, v194
	v_mul_f16_e32 v180, 0xba62, v118
	v_add_f16_e32 v184, v179, v193
	v_fma_f16 v179, v217, 0xb8d2, -v180
	v_fmamk_f16 v181, v217, 0xb8d2, v180
	v_add_f16_e32 v185, v179, v195
	v_mul_f16_e32 v179, 0x3b29, v117
	v_add_f16_e32 v201, v181, v196
	v_fma_f16 v180, v140, 0x3722, -v179
	v_fmac_f16_e32 v179, 0x3722, v140
	v_add_f16_e32 v194, v180, v204
	v_mul_f16_e32 v180, 0x3b29, v118
	v_add_f16_e32 v186, v179, v197
	v_fma_f16 v179, v217, 0x3722, -v180
	v_fmamk_f16 v181, v217, 0x3722, v180
	v_add_f16_e32 v187, v179, v205
	v_mul_f16_e32 v179, 0xbbb2, v117
	v_mul_f16_e32 v117, 0x3bf7, v117
	v_add_f16_e32 v195, v181, v207
	v_fma_f16 v180, v140, 0xb461, -v179
	v_fmac_f16_e32 v179, 0xb461, v140
	v_add_f16_e32 v196, v180, v208
	v_mul_f16_e32 v180, 0xbbb2, v118
	v_add_f16_e32 v188, v179, v206
	v_mul_f16_e32 v118, 0x3bf7, v118
	v_fma_f16 v179, v217, 0xb461, -v180
	v_fmamk_f16 v181, v217, 0xb461, v180
	v_add_f16_e32 v180, v202, v203
	v_add_f16_e32 v189, v179, v209
	v_fma_f16 v179, v140, 0x2de8, -v117
	v_fmac_f16_e32 v117, 0x2de8, v140
	v_add_f16_e32 v197, v181, v214
	v_sub_f16_e32 v181, v202, v203
	v_add_f16_e32 v190, v179, v215
	v_add_f16_e32 v192, v117, v127
	v_fma_f16 v117, v217, 0x2de8, -v118
	v_fmamk_f16 v179, v217, 0x2de8, v118
	v_add_f16_sdwa v118, v51, v177 dst_sel:DWORD dst_unused:UNUSED_PAD src0_sel:WORD_1 src1_sel:DWORD
	v_mul_f16_e32 v207, 0xbb29, v181
	v_mul_f16_e32 v215, 0xbbf7, v181
	v_add_f16_e32 v193, v117, v128
	v_add_f16_e32 v117, v51, v202
	;; [unrolled: 1-line block ×4, first 2 shown]
	v_sub_f16_e32 v216, v177, v178
	v_add_f16_e32 v179, v177, v178
	v_add_f16_e32 v117, v117, v169
	v_add_f16_e32 v118, v118, v168
	v_mul_f16_e32 v177, 0xb5c8, v181
	v_mul_f16_e32 v140, 0xb5c8, v216
	v_mul_f16_e32 v202, 0xb964, v216
	v_add_f16_e32 v117, v117, v167
	v_add_f16_e32 v118, v118, v166
	v_mul_f16_e32 v206, 0xbb29, v216
	v_mul_f16_e32 v214, 0xbbf7, v216
	v_mul_f16_e32 v217, 0xbbb2, v216
	v_add_f16_e32 v117, v117, v119
	v_add_f16_e32 v118, v118, v90
	;; [unrolled: 5-line block ×4, first 2 shown]
	v_fma_f16 v127, v180, 0x3b76, -v140
	v_fmamk_f16 v128, v179, 0x3b76, v177
	v_fmac_f16_e32 v140, 0x3b76, v180
	v_add_f16_e32 v117, v117, v81
	v_add_f16_e32 v118, v118, v78
	v_fma_f16 v177, v179, 0x3b76, -v177
	v_fma_f16 v204, v180, 0x3722, -v206
	v_fmamk_f16 v205, v179, 0x3722, v207
	v_add_f16_e32 v117, v117, v77
	v_add_f16_e32 v118, v118, v80
	v_fmac_f16_e32 v206, 0x3722, v180
	v_fma_f16 v207, v179, 0x3722, -v207
	v_fma_f16 v208, v180, 0x2de8, -v214
	v_add_f16_e32 v117, v117, v79
	v_add_f16_e32 v118, v118, v84
	v_fmamk_f16 v209, v179, 0x2de8, v215
	v_fmac_f16_e32 v214, 0x2de8, v180
	v_fma_f16 v215, v179, 0x2de8, -v215
	v_add_f16_e32 v117, v117, v83
	v_add_f16_e32 v118, v118, v88
	v_fma_f16 v218, v180, 0xb461, -v217
	v_fmamk_f16 v220, v179, 0xb461, v219
	v_fmac_f16_e32 v217, 0xb461, v180
	v_add_f16_e32 v117, v117, v87
	v_add_f16_e32 v118, v118, v92
	v_fma_f16 v219, v179, 0xb461, -v219
	v_fma_f16 v224, v180, 0xb8d2, -v221
	v_fmamk_f16 v226, v179, 0xb8d2, v225
	v_add_f16_e32 v117, v117, v91
	v_add_f16_e32 v118, v118, v172
	v_fmac_f16_e32 v221, 0xb8d2, v180
	v_fma_f16 v225, v179, 0xb8d2, -v225
	v_fma_f16 v228, v180, 0xbacd, -v227
	v_add_f16_e32 v117, v117, v171
	v_add_f16_e32 v118, v118, v174
	v_fmamk_f16 v230, v179, 0xbacd, v229
	v_fmac_f16_e32 v227, 0xbacd, v180
	v_fma_f16 v229, v179, 0xbacd, -v229
	v_add_f16_e32 v117, v117, v173
	v_add_f16_e32 v118, v118, v176
	v_fma_f16 v231, v180, 0xbbdd, -v216
	v_fmac_f16_e32 v216, 0xbbdd, v180
	v_add_f16_e32 v127, v51, v127
	v_add_f16_e32 v117, v117, v175
	;; [unrolled: 1-line block ×3, first 2 shown]
	v_fma_f16 v178, v180, 0x39e9, -v202
	v_fmac_f16_e32 v202, 0x39e9, v180
	v_add_f16_sdwa v128, v51, v128 dst_sel:DWORD dst_unused:UNUSED_PAD src0_sel:WORD_1 src1_sel:DWORD
	v_add_f16_e32 v117, v117, v203
	v_mul_f16_e32 v203, 0xb964, v181
	v_mul_f16_e32 v181, 0xb1e1, v181
	v_add_f16_e32 v140, v51, v140
	v_add_f16_sdwa v177, v51, v177 dst_sel:DWORD dst_unused:UNUSED_PAD src0_sel:WORD_1 src1_sel:DWORD
	v_add_f16_e32 v178, v51, v178
	v_fmamk_f16 v182, v179, 0x39e9, v203
	v_fma_f16 v203, v179, 0x39e9, -v203
	v_fmamk_f16 v232, v179, 0xbbdd, v181
	v_fma_f16 v179, v179, 0xbbdd, -v181
	v_add_f16_e32 v181, v170, v176
	v_sub_f16_e32 v170, v170, v176
	v_add_f16_sdwa v182, v51, v182 dst_sel:DWORD dst_unused:UNUSED_PAD src0_sel:WORD_1 src1_sel:DWORD
	v_add_f16_e32 v202, v51, v202
	v_add_f16_sdwa v203, v51, v203 dst_sel:DWORD dst_unused:UNUSED_PAD src0_sel:WORD_1 src1_sel:DWORD
	v_add_f16_e32 v204, v51, v204
	;; [unrolled: 2-line block ×14, first 2 shown]
	v_sub_f16_e32 v169, v169, v175
	v_mul_f16_e32 v175, 0xb964, v170
	v_fma_f16 v176, v179, 0x39e9, -v175
	v_fmac_f16_e32 v175, 0x39e9, v179
	v_add_f16_e32 v127, v176, v127
	v_mul_f16_e32 v176, 0xb964, v169
	v_add_f16_e32 v140, v175, v140
	v_fmamk_f16 v216, v181, 0x39e9, v176
	v_fma_f16 v175, v181, 0x39e9, -v176
	v_mul_f16_e32 v176, 0xbbf7, v170
	v_add_f16_e32 v128, v216, v128
	v_add_f16_e32 v175, v175, v177
	v_fma_f16 v177, v179, 0x2de8, -v176
	v_fmac_f16_e32 v176, 0x2de8, v179
	v_add_f16_e32 v177, v177, v178
	v_mul_f16_e32 v178, 0xbbf7, v169
	v_add_f16_e32 v176, v176, v202
	v_mul_f16_e32 v202, 0xba62, v170
	v_fmamk_f16 v216, v181, 0x2de8, v178
	v_fma_f16 v178, v181, 0x2de8, -v178
	v_add_f16_e32 v182, v216, v182
	v_add_f16_e32 v178, v178, v203
	v_fma_f16 v203, v179, 0xb8d2, -v202
	v_fmac_f16_e32 v202, 0xb8d2, v179
	v_add_f16_e32 v203, v203, v204
	v_mul_f16_e32 v204, 0xba62, v169
	v_add_f16_e32 v202, v202, v206
	v_mul_f16_e32 v206, 0xb1e1, v170
	v_fmamk_f16 v216, v181, 0xb8d2, v204
	v_fma_f16 v204, v181, 0xb8d2, -v204
	;; [unrolled: 10-line block ×3, first 2 shown]
	v_add_f16_e32 v209, v216, v209
	v_add_f16_e32 v208, v208, v215
	v_fma_f16 v215, v179, 0xbacd, -v214
	v_mul_f16_e32 v216, 0x3836, v169
	v_fmac_f16_e32 v214, 0xbacd, v179
	v_add_f16_e32 v215, v215, v218
	v_fmamk_f16 v218, v181, 0xbacd, v216
	v_add_f16_e32 v214, v214, v217
	v_fma_f16 v216, v181, 0xbacd, -v216
	v_mul_f16_e32 v217, 0x3bb2, v170
	v_add_f16_e32 v218, v218, v220
	v_mul_f16_e32 v220, 0x3bb2, v169
	v_add_f16_e32 v216, v216, v219
	v_fma_f16 v219, v179, 0xb461, -v217
	v_fmac_f16_e32 v217, 0xb461, v179
	v_add_f16_e32 v219, v219, v224
	v_fmamk_f16 v224, v181, 0xb461, v220
	v_add_f16_e32 v217, v217, v221
	v_fma_f16 v220, v181, 0xb461, -v220
	v_mul_f16_e32 v221, 0x3b29, v170
	v_mul_f16_e32 v170, 0x35c8, v170
	v_add_f16_e32 v224, v224, v226
	v_mul_f16_e32 v226, 0x3b29, v169
	v_add_f16_e32 v220, v220, v225
	v_fma_f16 v225, v179, 0x3722, -v221
	v_fmac_f16_e32 v221, 0x3722, v179
	v_mul_f16_e32 v169, 0x35c8, v169
	v_add_f16_e32 v225, v225, v228
	v_fmamk_f16 v228, v181, 0x3722, v226
	v_fma_f16 v226, v181, 0x3722, -v226
	v_add_f16_e32 v221, v221, v227
	v_fma_f16 v227, v179, 0x3b76, -v170
	v_fmac_f16_e32 v170, 0x3b76, v179
	v_add_f16_e32 v179, v168, v174
	v_add_f16_e32 v226, v226, v229
	v_fmamk_f16 v229, v181, 0x3b76, v169
	v_fma_f16 v169, v181, 0x3b76, -v169
	v_sub_f16_e32 v168, v168, v174
	v_add_f16_e32 v170, v170, v180
	v_add_f16_e32 v227, v227, v231
	;; [unrolled: 1-line block ×5, first 2 shown]
	v_sub_f16_e32 v167, v167, v173
	v_mul_f16_e32 v173, 0xbb29, v168
	v_add_f16_e32 v229, v229, v232
	v_mul_f16_e32 v181, 0x31e1, v167
	v_fma_f16 v174, v169, 0x3722, -v173
	v_fmac_f16_e32 v173, 0x3722, v169
	v_add_f16_e32 v127, v174, v127
	v_mul_f16_e32 v174, 0xbb29, v167
	v_add_f16_e32 v140, v173, v140
	v_fmamk_f16 v180, v179, 0x3722, v174
	v_fma_f16 v173, v179, 0x3722, -v174
	v_mul_f16_e32 v174, 0xba62, v168
	v_add_f16_e32 v128, v180, v128
	v_add_f16_e32 v173, v173, v175
	v_fma_f16 v175, v169, 0xb8d2, -v174
	v_fmac_f16_e32 v174, 0xb8d2, v169
	v_add_f16_e32 v175, v175, v177
	v_mul_f16_e32 v177, 0xba62, v167
	v_add_f16_e32 v174, v174, v176
	v_fmamk_f16 v180, v179, 0xb8d2, v177
	v_fma_f16 v176, v179, 0xb8d2, -v177
	v_mul_f16_e32 v177, 0x31e1, v168
	v_add_f16_e32 v180, v180, v182
	v_add_f16_e32 v176, v176, v178
	v_fma_f16 v178, v169, 0xbbdd, -v177
	v_fmac_f16_e32 v177, 0xbbdd, v169
	v_fmamk_f16 v182, v179, 0xbbdd, v181
	v_fma_f16 v181, v179, 0xbbdd, -v181
	v_add_f16_e32 v178, v178, v203
	v_add_f16_e32 v177, v177, v202
	v_mul_f16_e32 v202, 0x3bb2, v168
	v_add_f16_e32 v181, v181, v204
	v_mul_f16_e32 v204, 0x3bb2, v167
	v_add_f16_e32 v182, v182, v205
	v_fma_f16 v203, v169, 0xb461, -v202
	v_fmac_f16_e32 v202, 0xb461, v169
	v_fmamk_f16 v205, v179, 0xb461, v204
	v_fma_f16 v204, v179, 0xb461, -v204
	v_add_f16_e32 v203, v203, v207
	v_add_f16_e32 v202, v202, v206
	v_mul_f16_e32 v206, 0x3964, v168
	v_add_f16_e32 v204, v204, v208
	v_mul_f16_e32 v208, 0x3964, v167
	;; [unrolled: 10-line block ×4, first 2 shown]
	v_mul_f16_e32 v168, 0xb836, v168
	v_mul_f16_e32 v167, 0xb836, v167
	v_fma_f16 v219, v169, 0x2de8, -v217
	v_fmac_f16_e32 v217, 0x2de8, v169
	v_add_f16_e32 v218, v218, v224
	v_fmamk_f16 v224, v179, 0x2de8, v220
	v_fma_f16 v220, v179, 0x2de8, -v220
	v_add_f16_e32 v219, v219, v225
	v_add_f16_e32 v217, v217, v221
	v_fma_f16 v221, v169, 0xbacd, -v168
	v_fmamk_f16 v225, v179, 0xbacd, v167
	v_fmac_f16_e32 v168, 0xbacd, v169
	v_fma_f16 v167, v179, 0xbacd, -v167
	v_add_f16_e32 v169, v166, v172
	v_sub_f16_e32 v166, v166, v172
	v_add_f16_e32 v220, v220, v226
	v_add_f16_e32 v168, v168, v170
	;; [unrolled: 1-line block ×4, first 2 shown]
	v_mul_f16_e32 v170, 0xbbf7, v166
	v_sub_f16_e32 v119, v119, v171
	v_add_f16_e32 v221, v221, v227
	v_add_f16_e32 v224, v224, v228
	;; [unrolled: 1-line block ×3, first 2 shown]
	v_fma_f16 v171, v167, 0x2de8, -v170
	v_fmac_f16_e32 v170, 0x2de8, v167
	v_add_f16_e32 v127, v171, v127
	v_mul_f16_e32 v171, 0xbbf7, v119
	v_add_f16_e32 v140, v170, v140
	v_fmamk_f16 v172, v169, 0x2de8, v171
	v_fma_f16 v170, v169, 0x2de8, -v171
	v_mul_f16_e32 v171, 0xb1e1, v166
	v_add_f16_e32 v128, v172, v128
	v_add_f16_e32 v170, v170, v173
	v_fma_f16 v172, v167, 0xbbdd, -v171
	v_mul_f16_e32 v173, 0xb1e1, v119
	v_fmac_f16_e32 v171, 0xbbdd, v167
	v_add_f16_e32 v172, v172, v175
	v_fmamk_f16 v175, v169, 0xbbdd, v173
	v_add_f16_e32 v171, v171, v174
	v_fma_f16 v173, v169, 0xbbdd, -v173
	v_mul_f16_e32 v174, 0x3bb2, v166
	v_add_f16_e32 v175, v175, v180
	v_add_f16_e32 v173, v173, v176
	v_fma_f16 v176, v167, 0xb461, -v174
	v_fmac_f16_e32 v174, 0xb461, v167
	v_add_f16_e32 v176, v176, v178
	v_mul_f16_e32 v178, 0x3bb2, v119
	v_add_f16_e32 v174, v174, v177
	v_fmamk_f16 v179, v169, 0xb461, v178
	v_fma_f16 v177, v169, 0xb461, -v178
	v_mul_f16_e32 v178, 0x35c8, v166
	v_add_f16_e32 v179, v179, v182
	v_add_f16_e32 v177, v177, v181
	v_fma_f16 v180, v167, 0x3b76, -v178
	v_mul_f16_e32 v181, 0x35c8, v119
	v_fmac_f16_e32 v178, 0x3b76, v167
	v_add_f16_e32 v180, v180, v203
	v_fmamk_f16 v182, v169, 0x3b76, v181
	v_add_f16_e32 v178, v178, v202
	v_fma_f16 v181, v169, 0x3b76, -v181
	v_mul_f16_e32 v202, 0xbb29, v166
	v_add_f16_e32 v182, v182, v205
	v_add_f16_e32 v181, v181, v204
	v_fma_f16 v203, v167, 0x3722, -v202
	v_mul_f16_e32 v204, 0xbb29, v119
	v_fmac_f16_e32 v202, 0x3722, v167
	v_add_f16_e32 v203, v203, v207
	v_fmamk_f16 v205, v169, 0x3722, v204
	v_add_f16_e32 v202, v202, v206
	;; [unrolled: 10-line block ×3, first 2 shown]
	v_fma_f16 v208, v169, 0xbacd, -v208
	v_mul_f16_e32 v214, 0x3a62, v166
	v_mul_f16_e32 v166, 0x3964, v166
	v_add_f16_e32 v209, v209, v218
	v_add_f16_e32 v208, v208, v216
	v_fma_f16 v215, v167, 0xb8d2, -v214
	v_mul_f16_e32 v216, 0x3a62, v119
	v_fmac_f16_e32 v214, 0xb8d2, v167
	v_mul_f16_e32 v119, 0x3964, v119
	v_add_f16_e32 v215, v215, v219
	v_fmamk_f16 v218, v169, 0xb8d2, v216
	v_add_f16_e32 v214, v214, v217
	v_fma_f16 v217, v167, 0x39e9, -v166
	v_fmamk_f16 v219, v169, 0x39e9, v119
	v_fmac_f16_e32 v166, 0x39e9, v167
	v_fma_f16 v119, v169, 0x39e9, -v119
	v_add_f16_e32 v167, v90, v92
	v_sub_f16_e32 v90, v90, v92
	v_fma_f16 v216, v169, 0xb8d2, -v216
	v_add_f16_e32 v166, v166, v168
	v_add_f16_e32 v51, v119, v51
	;; [unrolled: 1-line block ×3, first 2 shown]
	v_sub_f16_e32 v89, v89, v91
	v_mul_f16_e32 v91, 0xbbb2, v90
	v_add_f16_e32 v216, v216, v220
	v_add_f16_e32 v217, v217, v221
	;; [unrolled: 1-line block ×3, first 2 shown]
	v_mul_f16_e32 v169, 0x3836, v89
	v_fma_f16 v92, v119, 0xb461, -v91
	v_fmac_f16_e32 v91, 0xb461, v119
	v_add_f16_e32 v219, v219, v225
	v_add_f16_e32 v92, v92, v127
	v_mul_f16_e32 v127, 0xbbb2, v89
	v_add_f16_e32 v91, v91, v140
	v_mul_f16_e32 v140, 0x3836, v90
	v_fmamk_f16 v168, v167, 0xb461, v127
	v_fma_f16 v127, v167, 0xb461, -v127
	v_add_f16_e32 v128, v168, v128
	v_fma_f16 v168, v119, 0xbacd, -v140
	v_fmac_f16_e32 v140, 0xbacd, v119
	v_add_f16_e32 v127, v127, v170
	v_fmamk_f16 v170, v167, 0xbacd, v169
	v_fma_f16 v169, v167, 0xbacd, -v169
	v_add_f16_e32 v168, v168, v172
	v_add_f16_e32 v140, v140, v171
	v_mul_f16_e32 v171, 0x3964, v90
	v_add_f16_e32 v170, v170, v175
	v_add_f16_e32 v169, v169, v173
	v_mul_f16_e32 v173, 0x3964, v89
	v_fma_f16 v172, v119, 0x39e9, -v171
	v_fmac_f16_e32 v171, 0x39e9, v119
	v_fmamk_f16 v175, v167, 0x39e9, v173
	v_fma_f16 v173, v167, 0x39e9, -v173
	v_add_f16_e32 v172, v172, v176
	v_add_f16_e32 v171, v171, v174
	v_mul_f16_e32 v174, 0xbb29, v90
	v_add_f16_e32 v175, v175, v179
	v_add_f16_e32 v173, v173, v177
	v_mul_f16_e32 v177, 0xbb29, v89
	v_fma_f16 v176, v119, 0x3722, -v174
	v_fmac_f16_e32 v174, 0x3722, v119
	;; [unrolled: 10-line block ×4, first 2 shown]
	v_fmamk_f16 v205, v167, 0x2de8, v204
	v_fma_f16 v204, v167, 0x2de8, -v204
	v_add_f16_e32 v203, v203, v207
	v_add_f16_e32 v202, v202, v206
	v_mul_f16_e32 v206, 0xb5c8, v90
	v_mul_f16_e32 v90, 0xba62, v90
	v_add_f16_e32 v204, v204, v208
	v_mul_f16_e32 v208, 0xb5c8, v89
	v_mul_f16_e32 v89, 0xba62, v89
	v_fma_f16 v207, v119, 0x3b76, -v206
	v_fmac_f16_e32 v206, 0x3b76, v119
	v_add_f16_e32 v205, v205, v209
	v_fmamk_f16 v209, v167, 0x3b76, v208
	v_fma_f16 v208, v167, 0x3b76, -v208
	v_add_f16_e32 v207, v207, v215
	v_add_f16_e32 v206, v206, v214
	v_fma_f16 v214, v119, 0xb8d2, -v90
	v_fmamk_f16 v215, v167, 0xb8d2, v89
	v_fmac_f16_e32 v90, 0xb8d2, v119
	v_fma_f16 v89, v167, 0xb8d2, -v89
	v_add_f16_e32 v119, v86, v88
	v_sub_f16_e32 v86, v86, v88
	v_add_f16_e32 v208, v208, v216
	v_add_f16_e32 v90, v90, v166
	v_add_f16_e32 v51, v89, v51
	v_add_f16_e32 v89, v85, v87
	v_sub_f16_e32 v85, v85, v87
	v_mul_f16_e32 v87, 0xba62, v86
	v_add_f16_e32 v214, v214, v217
	v_add_f16_e32 v209, v209, v218
	;; [unrolled: 1-line block ×3, first 2 shown]
	v_fma_f16 v88, v89, 0xb8d2, -v87
	v_fmac_f16_e32 v87, 0xb8d2, v89
	v_add_f16_e32 v88, v88, v92
	v_mul_f16_e32 v92, 0xba62, v85
	v_add_f16_e32 v87, v87, v91
	v_fmamk_f16 v166, v119, 0xb8d2, v92
	v_fma_f16 v91, v119, 0xb8d2, -v92
	v_mul_f16_e32 v92, 0x3bb2, v86
	v_add_f16_e32 v128, v166, v128
	v_add_f16_e32 v91, v91, v127
	v_fma_f16 v127, v89, 0xb461, -v92
	v_mul_f16_e32 v166, 0x3bb2, v85
	v_fmac_f16_e32 v92, 0xb461, v89
	v_add_f16_e32 v127, v127, v168
	v_fmamk_f16 v167, v119, 0xb461, v166
	v_add_f16_e32 v92, v92, v140
	v_fma_f16 v140, v119, 0xb461, -v166
	v_mul_f16_e32 v166, 0xb5c8, v86
	v_add_f16_e32 v167, v167, v170
	v_add_f16_e32 v140, v140, v169
	v_fma_f16 v168, v89, 0x3b76, -v166
	v_mul_f16_e32 v169, 0xb5c8, v85
	v_fmac_f16_e32 v166, 0x3b76, v89
	v_add_f16_e32 v168, v168, v172
	v_fmamk_f16 v170, v119, 0x3b76, v169
	v_add_f16_e32 v166, v166, v171
	;; [unrolled: 10-line block ×5, first 2 shown]
	v_fma_f16 v181, v119, 0x39e9, -v181
	v_mul_f16_e32 v202, 0xb1e1, v86
	v_mul_f16_e32 v86, 0x3b29, v86
	v_add_f16_e32 v182, v182, v205
	v_add_f16_e32 v181, v181, v204
	v_fma_f16 v203, v89, 0xbbdd, -v202
	v_mul_f16_e32 v204, 0xb1e1, v85
	v_fmac_f16_e32 v202, 0xbbdd, v89
	v_mul_f16_e32 v85, 0x3b29, v85
	v_add_f16_e32 v203, v203, v207
	v_fmamk_f16 v205, v119, 0xbbdd, v204
	v_add_f16_e32 v202, v202, v206
	v_fma_f16 v206, v89, 0x3722, -v86
	v_fmamk_f16 v207, v119, 0x3722, v85
	v_fmac_f16_e32 v86, 0x3722, v89
	v_fma_f16 v85, v119, 0x3722, -v85
	v_add_f16_e32 v89, v82, v84
	v_sub_f16_e32 v82, v82, v84
	v_fma_f16 v204, v119, 0xbbdd, -v204
	v_add_f16_e32 v86, v86, v90
	v_add_f16_e32 v51, v85, v51
	;; [unrolled: 1-line block ×3, first 2 shown]
	v_sub_f16_e32 v81, v81, v83
	v_mul_f16_e32 v83, 0xb836, v82
	v_add_f16_e32 v204, v204, v208
	v_add_f16_e32 v206, v206, v214
	;; [unrolled: 1-line block ×3, first 2 shown]
	v_mul_f16_e32 v119, 0x3b29, v81
	v_fma_f16 v84, v85, 0xbacd, -v83
	v_fmac_f16_e32 v83, 0xbacd, v85
	v_add_f16_e32 v205, v205, v209
	v_add_f16_e32 v84, v84, v88
	v_mul_f16_e32 v88, 0xb836, v81
	v_add_f16_e32 v83, v83, v87
	v_fmamk_f16 v90, v89, 0xbacd, v88
	v_fma_f16 v87, v89, 0xbacd, -v88
	v_mul_f16_e32 v88, 0x3b29, v82
	v_add_f16_e32 v90, v90, v128
	v_add_f16_e32 v87, v87, v91
	v_fma_f16 v91, v85, 0x3722, -v88
	v_fmac_f16_e32 v88, 0x3722, v85
	v_add_f16_e32 v91, v91, v127
	v_fmamk_f16 v127, v89, 0x3722, v119
	v_add_f16_e32 v88, v88, v92
	v_fma_f16 v92, v89, 0x3722, -v119
	v_mul_f16_e32 v119, 0xbbf7, v82
	v_add_f16_e32 v127, v127, v167
	v_add_f16_e32 v92, v92, v140
	v_fma_f16 v128, v85, 0x2de8, -v119
	v_mul_f16_e32 v140, 0xbbf7, v81
	v_fmac_f16_e32 v119, 0x2de8, v85
	v_add_f16_e32 v128, v128, v168
	v_fmamk_f16 v167, v89, 0x2de8, v140
	v_add_f16_e32 v166, v119, v166
	v_fma_f16 v119, v89, 0x2de8, -v140
	v_add_f16_e32 v167, v167, v170
	v_add_f16_e32 v140, v119, v169
	v_mul_f16_e32 v119, 0x3a62, v82
	v_mul_f16_e32 v169, 0x3a62, v81
	v_fma_f16 v168, v85, 0xb8d2, -v119
	v_fmac_f16_e32 v119, 0xb8d2, v85
	v_fmamk_f16 v170, v89, 0xb8d2, v169
	v_add_f16_e32 v168, v168, v172
	v_add_f16_e32 v171, v119, v171
	v_fma_f16 v119, v89, 0xb8d2, -v169
	v_add_f16_e32 v170, v170, v175
	v_add_f16_e32 v169, v119, v173
	v_mul_f16_e32 v119, 0xb5c8, v82
	v_mul_f16_e32 v173, 0xb5c8, v81
	v_fma_f16 v172, v85, 0x3b76, -v119
	v_fmac_f16_e32 v119, 0x3b76, v85
	v_fmamk_f16 v175, v89, 0x3b76, v173
	v_add_f16_e32 v172, v172, v176
	;; [unrolled: 10-line block ×3, first 2 shown]
	v_add_f16_e32 v178, v119, v178
	v_fma_f16 v119, v89, 0xbbdd, -v177
	v_add_f16_e32 v179, v179, v182
	v_add_f16_e32 v177, v119, v181
	v_mul_f16_e32 v119, 0x3964, v82
	v_mul_f16_e32 v181, 0x3964, v81
	;; [unrolled: 1-line block ×4, first 2 shown]
	v_fma_f16 v180, v85, 0x39e9, -v119
	v_fmac_f16_e32 v119, 0x39e9, v85
	v_fmamk_f16 v182, v89, 0x39e9, v181
	v_add_f16_e32 v180, v180, v203
	v_add_f16_e32 v216, v119, v202
	v_fma_f16 v119, v89, 0x39e9, -v181
	v_add_f16_e32 v182, v182, v205
	v_add_f16_e32 v181, v119, v204
	v_fma_f16 v119, v85, 0xb461, -v82
	v_fmac_f16_e32 v82, 0xb461, v85
	v_add_f16_e32 v85, v77, v79
	v_sub_f16_e32 v77, v77, v79
	v_add_f16_e32 v218, v119, v206
	v_fmamk_f16 v119, v89, 0xb461, v81
	v_add_f16_e32 v82, v82, v86
	v_fma_f16 v81, v89, 0xb461, -v81
	v_add_f16_e32 v86, v78, v80
	v_sub_f16_e32 v78, v78, v80
	v_add_f16_e32 v219, v119, v207
	v_add_f16_e32 v81, v81, v51
	v_mul_f16_e32 v51, 0xb1e1, v78
	v_fma_f16 v79, v85, 0xbbdd, -v51
	v_fmac_f16_e32 v51, 0xbbdd, v85
	v_add_f16_e32 v236, v79, v84
	v_mul_f16_e32 v79, 0xb1e1, v77
	v_add_f16_e32 v51, v51, v83
	v_fmamk_f16 v80, v86, 0xbbdd, v79
	v_fma_f16 v79, v86, 0xbbdd, -v79
	v_add_f16_e32 v237, v80, v90
	v_add_f16_e32 v119, v79, v87
	v_mul_f16_e32 v79, 0x35c8, v78
	v_fma_f16 v80, v85, 0x3b76, -v79
	v_fmac_f16_e32 v79, 0x3b76, v85
	v_add_f16_e32 v232, v80, v91
	v_mul_f16_e32 v80, 0x35c8, v77
	v_add_f16_e32 v202, v79, v88
	v_fma_f16 v79, v86, 0x3b76, -v80
	v_fmamk_f16 v83, v86, 0x3b76, v80
	v_add_f16_e32 v203, v79, v92
	v_mul_f16_e32 v79, 0xb836, v78
	v_add_f16_e32 v233, v83, v127
	v_fma_f16 v80, v85, 0xbacd, -v79
	v_fmac_f16_e32 v79, 0xbacd, v85
	v_add_f16_e32 v234, v80, v128
	v_mul_f16_e32 v80, 0xb836, v77
	v_add_f16_e32 v204, v79, v166
	v_fma_f16 v79, v86, 0xbacd, -v80
	v_fmamk_f16 v83, v86, 0xbacd, v80
	v_add_f16_e32 v205, v79, v140
	v_mul_f16_e32 v79, 0x3964, v78
	v_add_f16_e32 v235, v83, v167
	v_fma_f16 v80, v85, 0x39e9, -v79
	v_fmac_f16_e32 v79, 0x39e9, v85
	v_add_f16_e32 v228, v80, v168
	v_mul_f16_e32 v80, 0x3964, v77
	v_add_f16_e32 v206, v79, v171
	v_fma_f16 v79, v86, 0x39e9, -v80
	v_fmamk_f16 v83, v86, 0x39e9, v80
	v_add_f16_e32 v207, v79, v169
	v_mul_f16_e32 v79, 0xba62, v78
	v_add_f16_e32 v229, v83, v170
	v_fma_f16 v80, v85, 0xb8d2, -v79
	v_fmac_f16_e32 v79, 0xb8d2, v85
	v_add_f16_e32 v230, v80, v172
	v_mul_f16_e32 v80, 0xba62, v77
	v_add_f16_e32 v208, v79, v174
	v_fma_f16 v79, v86, 0xb8d2, -v80
	v_fmamk_f16 v83, v86, 0xb8d2, v80
	v_add_f16_e32 v209, v79, v173
	v_mul_f16_e32 v79, 0x3b29, v78
	v_add_f16_e32 v231, v83, v175
	v_fma_f16 v80, v85, 0x3722, -v79
	v_fmac_f16_e32 v79, 0x3722, v85
	v_add_f16_e32 v224, v80, v176
	v_mul_f16_e32 v80, 0x3b29, v77
	v_add_f16_e32 v214, v79, v178
	v_fma_f16 v79, v86, 0x3722, -v80
	v_fmamk_f16 v83, v86, 0x3722, v80
	v_add_f16_e32 v215, v79, v177
	v_mul_f16_e32 v79, 0xbbb2, v78
	v_mul_f16_e32 v78, 0x3bf7, v78
	v_add_f16_e32 v225, v83, v179
	v_fma_f16 v80, v85, 0xb461, -v79
	v_fmac_f16_e32 v79, 0xb461, v85
	v_add_f16_e32 v226, v80, v180
	v_mul_f16_e32 v80, 0xbbb2, v77
	v_add_f16_e32 v216, v79, v216
	v_mul_f16_e32 v77, 0x3bf7, v77
	v_fma_f16 v79, v86, 0xb461, -v80
	v_fmamk_f16 v83, v86, 0xb461, v80
	v_sub_f16_e32 v80, v56, v52
	v_add_f16_e32 v217, v79, v181
	v_fma_f16 v79, v85, 0x2de8, -v78
	v_fmac_f16_e32 v78, 0x2de8, v85
	v_add_f16_e32 v227, v83, v182
	v_sub_f16_e32 v182, v58, v53
	v_mul_f16_e32 v85, 0xb964, v80
	v_add_f16_e32 v218, v79, v218
	v_fmamk_f16 v79, v86, 0x2de8, v77
	v_fma_f16 v77, v86, 0x2de8, -v77
	v_add_f16_e32 v220, v78, v82
	v_add_f16_e32 v78, v98, v49
	v_mul_f16_e32 v89, 0xbb29, v80
	v_add_f16_e32 v219, v79, v219
	v_sub_f16_e32 v79, v98, v49
	v_add_f16_e32 v221, v77, v81
	v_add_f16_e32 v77, v56, v52
	v_mul_f16_e32 v81, 0xb5c8, v80
	v_mul_f16_e32 v127, 0xbbf7, v80
	;; [unrolled: 1-line block ×10, first 2 shown]
	v_fma_f16 v82, v78, 0x3b76, -v81
	v_fmamk_f16 v84, v77, 0x3b76, v83
	v_fma_f16 v83, v77, 0x3b76, -v83
	v_fmamk_f16 v88, v77, 0x39e9, v87
	;; [unrolled: 2-line block ×4, first 2 shown]
	v_fma_f16 v140, v77, 0x2de8, -v140
	v_mul_f16_e32 v167, 0xbbb2, v80
	v_fmamk_f16 v170, v77, 0xb461, v169
	v_fma_f16 v169, v77, 0xb461, -v169
	v_mul_f16_e32 v171, 0xba62, v80
	v_fmamk_f16 v174, v77, 0xb8d2, v173
	;; [unrolled: 3-line block ×4, first 2 shown]
	v_fma_f16 v77, v77, 0xbbdd, -v79
	v_add_f16_e32 v79, v57, v54
	v_mul_f16_e32 v238, 0xb964, v182
	v_add_f16_e32 v82, v48, v82
	v_fmac_f16_e32 v81, 0x3b76, v78
	v_fma_f16 v179, v78, 0xbbdd, -v80
	v_fmac_f16_e32 v80, 0xbbdd, v78
	v_sub_f16_e32 v181, v57, v54
	v_fma_f16 v239, v79, 0x39e9, -v238
	v_add_f16_e32 v81, v48, v81
	v_fma_f16 v86, v78, 0x39e9, -v85
	v_fmac_f16_e32 v85, 0x39e9, v78
	v_fma_f16 v90, v78, 0x3722, -v89
	v_fmac_f16_e32 v89, 0x3722, v78
	;; [unrolled: 2-line block ×6, first 2 shown]
	v_add_f16_e32 v78, v48, v80
	v_add_f16_e32 v80, v58, v53
	;; [unrolled: 1-line block ×3, first 2 shown]
	v_mul_f16_e32 v239, 0xb964, v181
	v_fmac_f16_e32 v238, 0x39e9, v79
	v_add_f16_e32 v83, v73, v83
	v_add_f16_e32 v86, v48, v86
	;; [unrolled: 1-line block ×3, first 2 shown]
	v_fmamk_f16 v240, v80, 0x39e9, v239
	v_add_f16_e32 v81, v238, v81
	v_fma_f16 v238, v80, 0x39e9, -v239
	v_add_f16_e32 v87, v73, v87
	v_add_f16_e32 v84, v73, v84
	;; [unrolled: 1-line block ×5, first 2 shown]
	v_mul_f16_e32 v238, 0xbbf7, v182
	v_add_f16_e32 v84, v240, v84
	v_add_f16_e32 v91, v73, v91
	;; [unrolled: 1-line block ×4, first 2 shown]
	v_fma_f16 v239, v79, 0x2de8, -v238
	v_fmac_f16_e32 v238, 0x2de8, v79
	v_add_f16_e32 v127, v48, v127
	v_add_f16_e32 v140, v73, v140
	v_add_f16_e32 v92, v73, v92
	v_add_f16_e32 v86, v239, v86
	v_mul_f16_e32 v239, 0xbbf7, v181
	v_add_f16_e32 v85, v238, v85
	v_add_f16_e32 v168, v48, v168
	v_add_f16_e32 v167, v48, v167
	v_add_f16_e32 v169, v73, v169
	v_fma_f16 v238, v80, 0x2de8, -v239
	v_fmamk_f16 v240, v80, 0x2de8, v239
	v_add_f16_e32 v166, v73, v166
	v_add_f16_e32 v172, v48, v172
	;; [unrolled: 1-line block ×4, first 2 shown]
	v_mul_f16_e32 v238, 0xba62, v182
	v_add_f16_e32 v88, v240, v88
	v_add_f16_e32 v173, v73, v173
	;; [unrolled: 1-line block ×4, first 2 shown]
	v_fma_f16 v239, v79, 0xb8d2, -v238
	v_fmac_f16_e32 v238, 0xb8d2, v79
	v_add_f16_e32 v175, v48, v175
	v_add_f16_e32 v177, v73, v177
	;; [unrolled: 1-line block ×4, first 2 shown]
	v_mul_f16_e32 v239, 0xba62, v181
	v_add_f16_e32 v89, v238, v89
	v_add_f16_e32 v180, v73, v180
	v_add_f16_e32 v77, v73, v77
	v_add_f16_e32 v174, v73, v174
	v_fma_f16 v238, v80, 0xb8d2, -v239
	v_fmamk_f16 v240, v80, 0xb8d2, v239
	v_add_f16_e32 v178, v73, v178
	v_add_f16_e32 v91, v238, v91
	v_mul_f16_e32 v238, 0xb1e1, v182
	v_add_f16_e32 v92, v240, v92
	v_fma_f16 v239, v79, 0xbbdd, -v238
	v_fmac_f16_e32 v238, 0xbbdd, v79
	v_add_f16_e32 v128, v239, v128
	v_mul_f16_e32 v239, 0xb1e1, v181
	v_add_f16_e32 v127, v238, v127
	v_fma_f16 v238, v80, 0xbbdd, -v239
	v_fmamk_f16 v240, v80, 0xbbdd, v239
	v_add_f16_e32 v140, v238, v140
	v_mul_f16_e32 v238, 0x3836, v182
	v_add_f16_e32 v166, v240, v166
	v_fma_f16 v239, v79, 0xbacd, -v238
	v_fmac_f16_e32 v238, 0xbacd, v79
	v_add_f16_e32 v168, v239, v168
	v_mul_f16_e32 v239, 0x3836, v181
	v_add_f16_e32 v167, v238, v167
	v_fma_f16 v238, v80, 0xbacd, -v239
	v_fmamk_f16 v240, v80, 0xbacd, v239
	v_add_f16_e32 v169, v238, v169
	v_mul_f16_e32 v238, 0x3bb2, v182
	v_add_f16_e32 v170, v240, v170
	v_fma_f16 v239, v79, 0xb461, -v238
	v_fmac_f16_e32 v238, 0xb461, v79
	v_add_f16_e32 v172, v239, v172
	v_mul_f16_e32 v239, 0x3bb2, v181
	v_add_f16_e32 v171, v238, v171
	v_fma_f16 v238, v80, 0xb461, -v239
	v_fmamk_f16 v240, v80, 0xb461, v239
	v_add_f16_e32 v173, v238, v173
	v_mul_f16_e32 v238, 0x3b29, v182
	v_mul_f16_e32 v182, 0x35c8, v182
	v_add_f16_e32 v174, v240, v174
	v_fma_f16 v239, v79, 0x3722, -v238
	v_fmac_f16_e32 v238, 0x3722, v79
	v_add_f16_e32 v176, v239, v176
	v_mul_f16_e32 v239, 0x3b29, v181
	v_add_f16_e32 v175, v238, v175
	v_mul_f16_e32 v181, 0x35c8, v181
	v_fma_f16 v238, v80, 0x3722, -v239
	v_fmamk_f16 v240, v80, 0x3722, v239
	v_add_f16_e32 v177, v238, v177
	v_fma_f16 v238, v79, 0x3b76, -v182
	v_fmac_f16_e32 v182, 0x3b76, v79
	v_fma_f16 v79, v80, 0x3b76, -v181
	v_add_f16_e32 v178, v240, v178
	v_add_f16_e32 v179, v238, v179
	v_fmamk_f16 v238, v80, 0x3b76, v181
	v_add_f16_e32 v78, v182, v78
	v_sub_f16_e32 v182, v61, v59
	v_add_f16_e32 v77, v79, v77
	v_add_f16_e32 v79, v60, v55
	;; [unrolled: 1-line block ×3, first 2 shown]
	v_sub_f16_e32 v181, v60, v55
	v_mul_f16_e32 v238, 0xbb29, v182
	v_add_f16_e32 v80, v61, v59
	v_fma_f16 v239, v79, 0x3722, -v238
	v_fmac_f16_e32 v238, 0x3722, v79
	v_add_f16_e32 v82, v239, v82
	v_mul_f16_e32 v239, 0xbb29, v181
	v_add_f16_e32 v81, v238, v81
	v_fma_f16 v238, v80, 0x3722, -v239
	v_fmamk_f16 v240, v80, 0x3722, v239
	v_add_f16_e32 v83, v238, v83
	v_mul_f16_e32 v238, 0xba62, v182
	v_add_f16_e32 v84, v240, v84
	v_fma_f16 v239, v79, 0xb8d2, -v238
	v_fmac_f16_e32 v238, 0xb8d2, v79
	v_add_f16_e32 v86, v239, v86
	v_mul_f16_e32 v239, 0xba62, v181
	v_add_f16_e32 v85, v238, v85
	v_fma_f16 v238, v80, 0xb8d2, -v239
	v_fmamk_f16 v240, v80, 0xb8d2, v239
	v_add_f16_e32 v87, v238, v87
	;; [unrolled: 10-line block ×6, first 2 shown]
	v_mul_f16_e32 v238, 0xbbf7, v182
	v_mul_f16_e32 v182, 0xb836, v182
	v_add_f16_e32 v174, v240, v174
	v_fma_f16 v239, v79, 0x2de8, -v238
	v_fmac_f16_e32 v238, 0x2de8, v79
	v_add_f16_e32 v176, v239, v176
	v_mul_f16_e32 v239, 0xbbf7, v181
	v_add_f16_e32 v175, v238, v175
	v_mul_f16_e32 v181, 0xb836, v181
	v_fma_f16 v238, v80, 0x2de8, -v239
	v_fmamk_f16 v240, v80, 0x2de8, v239
	v_add_f16_e32 v177, v238, v177
	v_fma_f16 v238, v79, 0xbacd, -v182
	v_fmac_f16_e32 v182, 0xbacd, v79
	v_fma_f16 v79, v80, 0xbacd, -v181
	v_add_f16_e32 v178, v240, v178
	v_add_f16_e32 v179, v238, v179
	v_fmamk_f16 v238, v80, 0xbacd, v181
	v_add_f16_e32 v78, v182, v78
	v_sub_f16_e32 v182, v65, v63
	v_add_f16_e32 v77, v79, v77
	v_add_f16_e32 v79, v64, v62
	v_add_f16_e32 v180, v238, v180
	v_sub_f16_e32 v181, v64, v62
	v_mul_f16_e32 v238, 0xbbf7, v182
	v_add_f16_e32 v80, v65, v63
	v_fma_f16 v239, v79, 0x2de8, -v238
	v_fmac_f16_e32 v238, 0x2de8, v79
	v_add_f16_e32 v82, v239, v82
	v_mul_f16_e32 v239, 0xbbf7, v181
	v_add_f16_e32 v81, v238, v81
	v_fma_f16 v238, v80, 0x2de8, -v239
	v_fmamk_f16 v240, v80, 0x2de8, v239
	v_add_f16_e32 v83, v238, v83
	v_mul_f16_e32 v238, 0xb1e1, v182
	v_add_f16_e32 v84, v240, v84
	v_fma_f16 v239, v79, 0xbbdd, -v238
	v_fmac_f16_e32 v238, 0xbbdd, v79
	v_add_f16_e32 v86, v239, v86
	v_mul_f16_e32 v239, 0xb1e1, v181
	v_add_f16_e32 v85, v238, v85
	v_fma_f16 v238, v80, 0xbbdd, -v239
	v_fmamk_f16 v240, v80, 0xbbdd, v239
	v_add_f16_e32 v87, v238, v87
	;; [unrolled: 10-line block ×6, first 2 shown]
	v_mul_f16_e32 v238, 0x3a62, v182
	v_mul_f16_e32 v182, 0x3964, v182
	v_add_f16_e32 v174, v240, v174
	v_fma_f16 v239, v79, 0xb8d2, -v238
	v_fmac_f16_e32 v238, 0xb8d2, v79
	v_add_f16_e32 v176, v239, v176
	v_mul_f16_e32 v239, 0x3a62, v181
	v_add_f16_e32 v175, v238, v175
	v_mul_f16_e32 v181, 0x3964, v181
	v_fma_f16 v238, v80, 0xb8d2, -v239
	v_fmamk_f16 v240, v80, 0xb8d2, v239
	v_add_f16_e32 v177, v238, v177
	v_fma_f16 v238, v79, 0x39e9, -v182
	v_fmac_f16_e32 v182, 0x39e9, v79
	v_fma_f16 v79, v80, 0x39e9, -v181
	v_add_f16_e32 v178, v240, v178
	v_add_f16_e32 v179, v238, v179
	v_fmamk_f16 v238, v80, 0x39e9, v181
	v_add_f16_e32 v78, v182, v78
	v_sub_f16_e32 v182, v69, v67
	v_add_f16_e32 v77, v79, v77
	v_add_f16_e32 v79, v68, v66
	;; [unrolled: 1-line block ×3, first 2 shown]
	v_sub_f16_e32 v181, v68, v66
	v_mul_f16_e32 v238, 0xbbb2, v182
	v_add_f16_e32 v80, v69, v67
	v_fma_f16 v239, v79, 0xb461, -v238
	v_fmac_f16_e32 v238, 0xb461, v79
	v_add_f16_e32 v82, v239, v82
	v_mul_f16_e32 v239, 0xbbb2, v181
	v_add_f16_e32 v81, v238, v81
	v_fma_f16 v238, v80, 0xb461, -v239
	v_fmamk_f16 v240, v80, 0xb461, v239
	v_add_f16_e32 v83, v238, v83
	v_mul_f16_e32 v238, 0x3836, v182
	v_add_f16_e32 v84, v240, v84
	v_fma_f16 v239, v79, 0xbacd, -v238
	v_fmac_f16_e32 v238, 0xbacd, v79
	v_add_f16_e32 v86, v239, v86
	v_mul_f16_e32 v239, 0x3836, v181
	v_add_f16_e32 v85, v238, v85
	v_fma_f16 v238, v80, 0xbacd, -v239
	v_fmamk_f16 v240, v80, 0xbacd, v239
	v_add_f16_e32 v87, v238, v87
	;; [unrolled: 10-line block ×6, first 2 shown]
	v_mul_f16_e32 v238, 0xb5c8, v182
	v_mul_f16_e32 v182, 0xba62, v182
	v_add_f16_e32 v174, v240, v174
	v_fma_f16 v239, v79, 0x3b76, -v238
	v_fmac_f16_e32 v238, 0x3b76, v79
	v_add_f16_e32 v176, v239, v176
	v_mul_f16_e32 v239, 0xb5c8, v181
	v_add_f16_e32 v175, v238, v175
	v_mul_f16_e32 v181, 0xba62, v181
	v_fma_f16 v238, v80, 0x3b76, -v239
	v_fmamk_f16 v240, v80, 0x3b76, v239
	v_add_f16_e32 v177, v238, v177
	v_fma_f16 v238, v79, 0xb8d2, -v182
	v_fmac_f16_e32 v182, 0xb8d2, v79
	v_fma_f16 v79, v80, 0xb8d2, -v181
	v_add_f16_e32 v178, v240, v178
	v_add_f16_e32 v179, v238, v179
	v_fmamk_f16 v238, v80, 0xb8d2, v181
	v_add_f16_e32 v78, v182, v78
	v_sub_f16_e32 v182, v95, v93
	v_add_f16_e32 v77, v79, v77
	v_add_f16_e32 v79, v94, v75
	;; [unrolled: 1-line block ×3, first 2 shown]
	v_sub_f16_e32 v181, v94, v75
	v_mul_f16_e32 v238, 0xba62, v182
	v_add_f16_e32 v80, v95, v93
	v_fma_f16 v239, v79, 0xb8d2, -v238
	v_fmac_f16_e32 v238, 0xb8d2, v79
	v_add_f16_e32 v82, v239, v82
	v_mul_f16_e32 v239, 0xba62, v181
	v_add_f16_e32 v81, v238, v81
	v_fma_f16 v238, v80, 0xb8d2, -v239
	v_fmamk_f16 v240, v80, 0xb8d2, v239
	v_add_f16_e32 v83, v238, v83
	v_mul_f16_e32 v238, 0x3bb2, v182
	v_add_f16_e32 v84, v240, v84
	v_fma_f16 v239, v79, 0xb461, -v238
	v_fmac_f16_e32 v238, 0xb461, v79
	v_add_f16_e32 v86, v239, v86
	v_mul_f16_e32 v239, 0x3bb2, v181
	v_add_f16_e32 v85, v238, v85
	v_fma_f16 v238, v80, 0xb461, -v239
	v_fmamk_f16 v240, v80, 0xb461, v239
	v_add_f16_e32 v87, v238, v87
	;; [unrolled: 10-line block ×5, first 2 shown]
	v_mul_f16_e32 v140, 0xb964, v182
	v_add_f16_e32 v170, v240, v170
	v_fma_f16 v239, v79, 0x39e9, -v140
	v_fmac_f16_e32 v140, 0x39e9, v79
	v_add_f16_e32 v172, v239, v172
	v_mul_f16_e32 v239, 0xb964, v181
	v_fmamk_f16 v240, v80, 0x39e9, v239
	v_add_f16_e32 v174, v240, v174
	v_add_f16_e32 v240, v140, v171
	v_fma_f16 v140, v80, 0x39e9, -v239
	v_add_f16_e32 v173, v140, v173
	v_mul_f16_e32 v140, 0xb1e1, v182
	v_fma_f16 v171, v79, 0xbbdd, -v140
	v_fmac_f16_e32 v140, 0xbbdd, v79
	v_add_f16_e32 v239, v171, v176
	v_mul_f16_e32 v171, 0xb1e1, v181
	v_add_f16_e32 v242, v140, v175
	v_fma_f16 v140, v80, 0xbbdd, -v171
	v_fmamk_f16 v176, v80, 0xbbdd, v171
	v_add_f16_e32 v243, v140, v177
	v_mul_f16_e32 v140, 0x3b29, v182
	v_add_f16_e32 v241, v176, v178
	v_fma_f16 v171, v79, 0x3722, -v140
	v_fmac_f16_e32 v140, 0x3722, v79
	v_add_f16_e32 v182, v171, v179
	v_mul_f16_e32 v171, 0x3b29, v181
	v_add_f16_e32 v78, v140, v78
	v_mul_f16_e32 v140, 0xb836, v244
	v_sub_f16_e32 v181, v96, v110
	v_fma_f16 v79, v80, 0x3722, -v171
	v_fmamk_f16 v175, v80, 0x3722, v171
	v_add_f16_e32 v80, v97, v111
	v_add_f16_e32 v77, v79, v77
	;; [unrolled: 1-line block ×4, first 2 shown]
	v_fma_f16 v171, v79, 0xbacd, -v140
	v_fmac_f16_e32 v140, 0xbacd, v79
	v_add_f16_e32 v245, v171, v82
	v_mul_f16_e32 v82, 0xb836, v181
	v_add_f16_e32 v247, v140, v81
	v_fma_f16 v81, v80, 0xbacd, -v82
	v_fmamk_f16 v171, v80, 0xbacd, v82
	v_add_f16_e32 v248, v81, v83
	v_mul_f16_e32 v81, 0x3b29, v244
	v_add_f16_e32 v246, v171, v84
	v_fma_f16 v82, v79, 0x3722, -v81
	v_fmac_f16_e32 v81, 0x3722, v79
	v_add_f16_e32 v249, v82, v86
	v_mul_f16_e32 v82, 0x3b29, v181
	v_add_f16_e32 v251, v81, v85
	v_mul_f16_e32 v85, 0x3a62, v181
	v_fmamk_f16 v83, v80, 0x3722, v82
	v_fma_f16 v81, v80, 0x3722, -v82
	v_mul_f16_e32 v82, 0xbbf7, v244
	v_fmamk_f16 v86, v80, 0xb8d2, v85
	v_fma_f16 v85, v80, 0xb8d2, -v85
	v_add_f16_e32 v250, v83, v88
	v_add_f16_e32 v252, v81, v87
	v_fma_f16 v81, v79, 0x2de8, -v82
	v_mul_f16_e32 v83, 0xbbf7, v181
	v_fmac_f16_e32 v82, 0x2de8, v79
	v_mul_f16_e32 v87, 0xb5c8, v181
	v_add_f16_e32 v81, v81, v90
	v_fmamk_f16 v84, v80, 0x2de8, v83
	v_add_f16_e32 v140, v82, v89
	v_fma_f16 v82, v80, 0x2de8, -v83
	v_mul_f16_e32 v83, 0x3a62, v244
	v_mul_f16_e32 v89, 0xb1e1, v181
	v_add_f16_e32 v84, v84, v92
	v_fmamk_f16 v88, v80, 0x3b76, v87
	v_add_f16_e32 v171, v82, v91
	v_fma_f16 v82, v79, 0xb8d2, -v83
	v_fmac_f16_e32 v83, 0xb8d2, v79
	v_fmamk_f16 v90, v80, 0xbbdd, v89
	v_fma_f16 v89, v80, 0xbbdd, -v89
	v_mul_f16_e32 v91, 0x3964, v181
	v_add_f16_e32 v82, v82, v128
	v_add_f16_e32 v128, v86, v166
	v_mul_f16_e32 v86, 0xb5c8, v244
	v_add_f16_e32 v83, v83, v127
	v_add_f16_e32 v127, v85, v238
	;; [unrolled: 1-line block ×3, first 2 shown]
	v_mul_f16_e32 v90, 0x3964, v244
	v_fma_f16 v85, v79, 0x3b76, -v86
	v_fmac_f16_e32 v86, 0x3b76, v79
	v_add_f16_e32 v177, v89, v173
	v_fmamk_f16 v92, v80, 0x39e9, v91
	v_fma_f16 v89, v79, 0x39e9, -v90
	v_fmac_f16_e32 v90, 0x39e9, v79
	v_add_f16_e32 v176, v86, v167
	v_fma_f16 v86, v80, 0x3b76, -v87
	v_mul_f16_e32 v87, 0xb1e1, v244
	v_add_f16_e32 v92, v92, v241
	v_add_f16_e32 v179, v90, v242
	v_fma_f16 v90, v80, 0x39e9, -v91
	v_add_f16_e32 v178, v86, v169
	v_fma_f16 v86, v79, 0xbbdd, -v87
	v_fmac_f16_e32 v87, 0xbbdd, v79
	v_mul_f16_e32 v91, 0xbbb2, v244
	v_sub_f16_e32 v241, v106, v109
	v_add_f16_e32 v89, v89, v239
	v_add_f16_e32 v86, v86, v172
	;; [unrolled: 1-line block ×4, first 2 shown]
	v_fma_f16 v90, v79, 0xb461, -v91
	v_add_f16_e32 v238, v99, v108
	v_sub_f16_e32 v239, v99, v108
	v_mul_f16_e32 v172, 0xb836, v241
	v_add_f16_e32 v88, v88, v170
	v_add_f16_e32 v90, v90, v182
	;; [unrolled: 1-line block ×3, first 2 shown]
	v_mul_f16_e32 v173, 0xb836, v239
	v_fma_f16 v170, v238, 0xbacd, -v172
	v_fmac_f16_e32 v172, 0xbacd, v238
	v_add_f16_e32 v85, v85, v168
	v_mul_f16_e32 v166, 0xbbb2, v181
	v_fmac_f16_e32 v91, 0xb461, v79
	v_add_f16_e32 v81, v170, v81
	v_fmamk_f16 v170, v182, 0xbacd, v173
	v_mul_f16_e32 v79, 0xb1e1, v239
	v_fmamk_f16 v167, v80, 0xb461, v166
	v_add_f16_e32 v91, v91, v78
	v_fma_f16 v78, v80, 0xb461, -v166
	v_add_f16_e32 v170, v170, v84
	v_add_f16_e32 v84, v172, v140
	v_fma_f16 v140, v182, 0xbacd, -v173
	v_mul_f16_e32 v173, 0x3964, v239
	v_add_f16_e32 v181, v78, v77
	v_mul_f16_e32 v78, 0xb1e1, v241
	v_fmamk_f16 v80, v182, 0xbbdd, v79
	v_add_f16_e32 v171, v140, v171
	v_mul_f16_e32 v140, 0x3964, v241
	v_mul_f16_e32 v169, 0x35c8, v239
	v_fma_f16 v77, v238, 0xbbdd, -v78
	v_fmac_f16_e32 v78, 0xbbdd, v238
	v_add_f16_e32 v165, v80, v246
	v_fma_f16 v172, v238, 0x39e9, -v140
	v_fmac_f16_e32 v140, 0x39e9, v238
	v_fmamk_f16 v168, v182, 0x3b76, v169
	v_add_f16_e32 v80, v78, v247
	v_fma_f16 v78, v182, 0xbbdd, -v79
	v_add_f16_e32 v82, v172, v82
	v_fmamk_f16 v172, v182, 0x39e9, v173
	v_add_f16_e32 v83, v140, v83
	v_mul_f16_e32 v79, 0x35c8, v241
	v_add_f16_e32 v166, v78, v248
	v_fma_f16 v169, v182, 0x3b76, -v169
	v_add_f16_e32 v172, v172, v128
	v_fma_f16 v128, v182, 0x39e9, -v173
	v_fma_f16 v78, v238, 0x3b76, -v79
	v_fmac_f16_e32 v79, 0x3b76, v238
	v_add_f16_e32 v180, v167, v180
	v_add_f16_e32 v77, v77, v245
	v_add_f16_e32 v174, v128, v127
	v_mul_f16_e32 v127, 0xba62, v241
	v_add_f16_e32 v78, v78, v249
	v_add_f16_e32 v167, v168, v250
	;; [unrolled: 1-line block ×4, first 2 shown]
	v_fma_f16 v128, v238, 0xb8d2, -v127
	v_fmac_f16_e32 v127, 0xb8d2, v238
	v_add_f16_e32 v242, v128, v85
	v_mul_f16_e32 v128, 0xba62, v239
	v_mov_b32_e32 v85, v105
	v_fmamk_f16 v140, v182, 0xb8d2, v128
	v_add_f16_e32 v173, v140, v88
	v_add_f16_e32 v88, v127, v176
	v_fma_f16 v127, v182, 0xb8d2, -v128
	v_add_f16_e32 v176, v127, v178
	v_mul_f16_e32 v127, 0x3b29, v241
	v_fma_f16 v128, v238, 0x3722, -v127
	v_fmac_f16_e32 v127, 0x3722, v238
	v_add_f16_e32 v243, v128, v86
	v_mul_f16_e32 v128, 0x3b29, v239
	v_add_f16_e32 v87, v127, v87
	v_fma_f16 v127, v182, 0x3722, -v128
	v_fmamk_f16 v140, v182, 0x3722, v128
	v_add_f16_e32 v177, v127, v177
	v_mul_f16_e32 v127, 0xbbb2, v241
	v_add_f16_e32 v175, v140, v175
	v_fma_f16 v128, v238, 0xb461, -v127
	v_fmac_f16_e32 v127, 0xb461, v238
	v_add_f16_e32 v89, v128, v89
	v_mul_f16_e32 v128, 0xbbb2, v239
	v_fmamk_f16 v140, v182, 0xb461, v128
	v_add_f16_e32 v178, v140, v92
	v_add_f16_e32 v92, v127, v179
	v_fma_f16 v127, v182, 0xb461, -v128
	v_add_f16_e32 v179, v127, v240
	v_mul_f16_e32 v127, 0x3bf7, v241
	v_fma_f16 v128, v238, 0x2de8, -v127
	v_fmac_f16_e32 v127, 0x2de8, v238
	v_mov_b32_e32 v238, 0x77
	v_add_f16_e32 v90, v128, v90
	v_mul_f16_e32 v128, 0x3bf7, v239
	v_mul_u32_u24_sdwa v115, v115, v238 dst_sel:DWORD dst_unused:UNUSED_PAD src0_sel:WORD_0 src1_sel:DWORD
	v_add_f16_e32 v91, v127, v91
	v_fmamk_f16 v140, v182, 0x2de8, v128
	v_add_nc_u32_sdwa v115, v115, v116 dst_sel:DWORD dst_unused:UNUSED_PAD src0_sel:DWORD src1_sel:BYTE_0
	v_fma_f16 v127, v182, 0x2de8, -v128
	v_pack_b32_f16 v116, v222, v223
	v_add_f16_e32 v180, v140, v180
	v_lshl_add_u32 v182, v115, 2, v85
	v_pack_b32_f16 v115, v124, v126
	v_add_f16_e32 v181, v127, v181
	ds_write_b32 v182, v50 offset:448
	ds_write2_b32 v182, v115, v116 offset1:7
	v_pack_b32_f16 v115, v210, v211
	v_pack_b32_f16 v116, v212, v213
	v_mul_u32_u24_sdwa v50, v113, v238 dst_sel:DWORD dst_unused:UNUSED_PAD src0_sel:WORD_0 src1_sel:DWORD
	ds_write2_b32 v182, v115, v116 offset0:14 offset1:21
	v_pack_b32_f16 v115, v198, v199
	v_pack_b32_f16 v116, v200, v201
	v_add_nc_u32_sdwa v50, v50, v112 dst_sel:DWORD dst_unused:UNUSED_PAD src0_sel:DWORD src1_sel:BYTE_0
	v_pack_b32_f16 v112, v236, v237
	ds_write2_b32 v182, v115, v116 offset0:28 offset1:35
	v_pack_b32_f16 v115, v194, v195
	v_pack_b32_f16 v116, v196, v197
	ds_write2_b32 v182, v115, v116 offset0:42 offset1:49
	v_pack_b32_f16 v115, v190, v191
	;; [unrolled: 3-line block ×4, first 2 shown]
	v_pack_b32_f16 v116, v125, v183
	v_lshl_add_u32 v183, v50, 2, v85
	v_pack_b32_f16 v50, v117, v118
	v_and_b32_e32 v185, 0xff, v107
	ds_write2_b32 v182, v115, v116 offset0:84 offset1:91
	v_pack_b32_f16 v115, v122, v123
	v_pack_b32_f16 v116, v120, v121
	ds_write2_b32 v182, v115, v116 offset0:98 offset1:105
	ds_write2_b32 v183, v50, v112 offset1:7
	v_pack_b32_f16 v50, v232, v233
	v_pack_b32_f16 v112, v234, v235
	ds_write2_b32 v183, v50, v112 offset0:14 offset1:21
	v_pack_b32_f16 v50, v228, v229
	v_pack_b32_f16 v112, v230, v231
	ds_write2_b32 v183, v50, v112 offset0:28 offset1:35
	;; [unrolled: 3-line block ×7, first 2 shown]
	v_pack_b32_f16 v50, v51, v119
	ds_write_b32 v183, v50 offset:448
	s_and_saveexec_b32 s10, vcc_lo
	s_cbranch_execz .LBB0_5
; %bb.4:
	v_add_f16_e32 v48, v48, v98
	v_add_f16_e32 v50, v73, v56
	v_lshl_add_u32 v51, v185, 2, v85
	v_perm_b32 v56, v165, v77, 0x5040100
	v_add_f16_e32 v48, v48, v57
	v_add_f16_e32 v50, v50, v58
	v_perm_b32 v57, v167, v78, 0x5040100
	v_perm_b32 v58, v170, v81, 0x5040100
	v_add_f16_e32 v48, v48, v60
	v_add_f16_e32 v50, v50, v61
	v_perm_b32 v60, v172, v82, 0x5040100
	;; [unrolled: 4-line block ×3, first 2 shown]
	v_perm_b32 v65, v178, v89, 0x5040100
	v_add_f16_e32 v48, v48, v68
	v_add_f16_e32 v50, v50, v69
	v_add_nc_u32_e32 v69, 0x800, v51
	v_perm_b32 v68, v171, v84, 0x5040100
	v_add_f16_e32 v48, v48, v94
	v_add_f16_e32 v50, v50, v95
	;; [unrolled: 1-line block ×14, first 2 shown]
	v_perm_b32 v66, v180, v90, 0x5040100
	v_perm_b32 v67, v177, v87, 0x5040100
	v_add_f16_e32 v48, v48, v62
	v_add_f16_e32 v50, v50, v63
	v_perm_b32 v62, v181, v91, 0x5040100
	v_perm_b32 v63, v179, v92, 0x5040100
	v_add_f16_e32 v48, v48, v55
	v_add_f16_e32 v50, v50, v59
	v_perm_b32 v55, v176, v88, 0x5040100
	v_perm_b32 v59, v174, v83, 0x5040100
	v_add_f16_e32 v48, v48, v54
	v_add_f16_e32 v50, v50, v53
	v_add_nc_u32_e32 v54, 0x400, v51
	v_perm_b32 v53, v168, v79, 0x5040100
	ds_write2_b32 v54, v57, v58 offset0:234 offset1:241
	ds_write2_b32 v54, v60, v61 offset0:248 offset1:255
	;; [unrolled: 1-line block ×3, first 2 shown]
	v_add_f16_e32 v48, v48, v49
	v_add_f16_e32 v49, v50, v52
	v_perm_b32 v50, v166, v80, 0x5040100
	v_pack_b32_f16 v48, v48, v49
	ds_write2_b32 v69, v66, v62 offset0:20 offset1:27
	ds_write2_b32 v69, v63, v67 offset0:34 offset1:41
	;; [unrolled: 1-line block ×5, first 2 shown]
	ds_write_b32 v51, v50 offset:2352
.LBB0_5:
	s_or_b32 exec_lo, exec_lo, s10
	v_lshlrev_b32_e32 v75, 4, v163
	v_lshlrev_b32_e32 v48, 4, v72
	s_waitcnt lgkmcnt(0)
	s_barrier
	buffer_gl0_inv
	s_clause 0x1
	global_load_dwordx4 v[52:55], v75, s[2:3] offset:448
	global_load_dwordx4 v[48:51], v48, s[2:3] offset:448
	v_add_nc_u32_e32 v115, 0x400, v129
	ds_read2_b32 v[58:59], v129 offset0:238 offset1:255
	ds_read2_b32 v[56:57], v129 offset1:17
	ds_read2_b32 v[63:64], v129 offset0:136 offset1:153
	ds_read2_b32 v[93:94], v129 offset0:102 offset1:119
	;; [unrolled: 1-line block ×5, first 2 shown]
	v_add_nc_u32_e32 v106, 0x600, v129
	v_add_nc_u32_e32 v116, 0x800, v129
	v_lshl_add_u32 v169, v163, 2, v85
	ds_read_b32 v107, v129 offset:2312
	ds_read2_b32 v[67:68], v129 offset0:34 offset1:51
	ds_read2_b32 v[108:109], v129 offset0:170 offset1:187
	v_lshlrev_b32_e32 v86, 2, v143
	s_waitcnt lgkmcnt(9)
	v_lshrrev_b32_e32 v73, 16, v59
	v_lshrrev_b32_e32 v62, 16, v58
	s_waitcnt lgkmcnt(7)
	v_lshrrev_b32_e32 v72, 16, v63
	s_waitcnt lgkmcnt(6)
	v_lshrrev_b32_e32 v97, 16, v94
	s_waitcnt lgkmcnt(5)
	v_lshrrev_b32_e32 v111, 16, v61
	s_waitcnt lgkmcnt(4)
	v_lshrrev_b32_e32 v110, 16, v65
	v_lshrrev_b32_e32 v99, 16, v60
	s_waitcnt lgkmcnt(3)
	v_lshrrev_b32_e32 v112, 16, v96
	v_lshrrev_b32_e32 v69, 16, v57
	;; [unrolled: 1-line block ×3, first 2 shown]
	s_waitcnt vmcnt(1)
	v_mul_f16_sdwa v114, v58, v53 dst_sel:DWORD dst_unused:UNUSED_PAD src0_sel:DWORD src1_sel:WORD_1
	s_waitcnt vmcnt(0)
	v_mul_f16_sdwa v119, v72, v48 dst_sel:DWORD dst_unused:UNUSED_PAD src0_sel:DWORD src1_sel:WORD_1
	v_mul_f16_sdwa v120, v73, v49 dst_sel:DWORD dst_unused:UNUSED_PAD src0_sel:DWORD src1_sel:WORD_1
	;; [unrolled: 1-line block ×11, first 2 shown]
	v_fma_f16 v186, v63, v48, -v119
	v_fma_f16 v187, v59, v49, -v120
	;; [unrolled: 1-line block ×4, first 2 shown]
	v_mul_f16_sdwa v128, v97, v52 dst_sel:DWORD dst_unused:UNUSED_PAD src0_sel:DWORD src1_sel:WORD_1
	v_fmac_f16_e32 v114, v62, v53
	v_fmac_f16_e32 v118, v99, v55
	;; [unrolled: 1-line block ×8, first 2 shown]
	v_add_f16_e32 v63, v187, v65
	v_add_f16_e32 v72, v186, v188
	v_mul_f16_sdwa v113, v62, v53 dst_sel:DWORD dst_unused:UNUSED_PAD src0_sel:DWORD src1_sel:WORD_1
	v_fma_f16 v59, v94, v52, -v128
	v_sub_f16_e32 v73, v187, v186
	v_sub_f16_e32 v94, v65, v188
	v_mul_f16_sdwa v117, v99, v55 dst_sel:DWORD dst_unused:UNUSED_PAD src0_sel:DWORD src1_sel:WORD_1
	v_mul_f16_sdwa v184, v112, v54 dst_sel:DWORD dst_unused:UNUSED_PAD src0_sel:DWORD src1_sel:WORD_1
	v_add_f16_e32 v62, v57, v186
	v_sub_f16_e32 v99, v124, v123
	v_sub_f16_e32 v110, v125, v126
	v_fma_f16 v190, -0.5, v63, v57
	v_fmac_f16_e32 v57, -0.5, v72
	v_sub_f16_e32 v63, v127, v114
	v_sub_f16_e32 v72, v118, v140
	v_fma_f16 v58, v58, v53, -v113
	v_add_f16_e32 v112, v56, v59
	v_add_f16_e32 v191, v73, v94
	;; [unrolled: 1-line block ×3, first 2 shown]
	v_fma_f16 v61, v96, v54, -v184
	v_add_f16_e32 v96, v124, v125
	v_add_f16_e32 v97, v123, v126
	;; [unrolled: 1-line block ×4, first 2 shown]
	v_sub_f16_e32 v110, v114, v127
	v_add_f16_e32 v63, v63, v72
	v_sub_f16_e32 v72, v140, v118
	v_fma_f16 v60, v60, v55, -v117
	v_fma_f16 v121, -0.5, v73, v98
	v_add_f16_e32 v73, v112, v58
	v_add_f16_e32 v111, v69, v123
	v_fma_f16 v192, -0.5, v96, v69
	v_fmac_f16_e32 v69, -0.5, v97
	v_add_f16_e32 v97, v98, v127
	v_fmac_f16_e32 v98, -0.5, v94
	v_add_f16_e32 v94, v110, v72
	v_add_f16_e32 v72, v58, v61
	v_sub_f16_e32 v113, v59, v58
	v_sub_f16_e32 v117, v60, v61
	;; [unrolled: 1-line block ×5, first 2 shown]
	v_add_f16_e32 v61, v73, v61
	v_add_f16_e32 v73, v59, v60
	v_sub_f16_e32 v128, v124, v125
	v_sub_f16_e32 v184, v187, v65
	v_add_f16_e32 v97, v97, v114
	v_sub_f16_e32 v110, v114, v140
	v_sub_f16_e32 v59, v59, v60
	;; [unrolled: 1-line block ×3, first 2 shown]
	v_fma_f16 v114, -0.5, v72, v56
	v_fma_f16 v56, -0.5, v73, v56
	v_sub_f16_e32 v189, v123, v126
	v_add_f16_e32 v96, v113, v117
	v_add_f16_e32 v99, v119, v120
	v_sub_f16_e32 v194, v186, v188
	v_add_f16_e32 v62, v62, v187
	v_add_f16_e32 v111, v111, v124
	;; [unrolled: 1-line block ×3, first 2 shown]
	v_fmamk_f16 v117, v112, 0x3b9c, v114
	v_fmamk_f16 v127, v128, 0xbb9c, v57
	v_fmac_f16_e32 v57, 0x3b9c, v128
	v_fmamk_f16 v119, v59, 0xbb9c, v121
	v_fmac_f16_e32 v121, 0x3b9c, v59
	;; [unrolled: 2-line block ×4, first 2 shown]
	v_add_f16_e32 v60, v61, v60
	v_fmamk_f16 v61, v110, 0xbb9c, v56
	v_fmac_f16_e32 v56, 0x3b9c, v110
	v_fmac_f16_e32 v114, 0xbb9c, v112
	;; [unrolled: 1-line block ×7, first 2 shown]
	v_add_f16_e32 v58, v62, v65
	v_add_f16_e32 v59, v111, v125
	v_fmac_f16_e32 v57, 0xb8b4, v189
	v_fmac_f16_e32 v69, 0x38b4, v194
	;; [unrolled: 1-line block ×7, first 2 shown]
	v_add_f16_e32 v58, v58, v188
	v_add_f16_e32 v59, v59, v126
	v_fmac_f16_e32 v57, 0x34f2, v191
	v_fmac_f16_e32 v69, 0x34f2, v193
	;; [unrolled: 1-line block ×8, first 2 shown]
	v_add_f16_e32 v110, v72, v118
	v_pack_b32_f16 v69, v57, v69
	v_pack_b32_f16 v57, v58, v59
	;; [unrolled: 1-line block ×6, first 2 shown]
	ds_read2_b32 v[72:73], v129 offset0:68 offset1:85
	ds_read2_b32 v[96:97], v129 offset0:204 offset1:221
	v_pack_b32_f16 v60, v60, v110
	ds_read2_b32 v[110:111], v115 offset0:16 offset1:33
	ds_read2_b32 v[112:113], v106 offset0:126 offset1:143
	;; [unrolled: 1-line block ×6, first 2 shown]
	ds_write_b32 v169, v58 offset:476
	ds_write_b32 v169, v59 offset:952
	;; [unrolled: 1-line block ×3, first 2 shown]
	v_lshlrev_b32_e32 v56, 4, v70
	ds_write_b32 v169, v61 offset:1904
	ds_write2_b32 v129, v60, v57 offset1:17
	v_lshrrev_b32_e32 v94, 16, v66
	v_lshrrev_b32_e32 v70, 16, v64
	v_sub_f16_e32 v123, v123, v124
	global_load_dwordx4 v[60:63], v56, s[2:3] offset:448
	v_lshlrev_b32_e32 v56, 4, v74
	v_sub_f16_e32 v124, v126, v125
	s_waitcnt lgkmcnt(13)
	v_lshrrev_b32_e32 v126, 16, v108
	v_sub_f16_e32 v65, v188, v65
	v_fmac_f16_e32 v127, 0x38b4, v189
	global_load_dwordx4 v[56:59], v56, s[2:3] offset:448
	v_fmac_f16_e32 v140, 0xb8b4, v194
	s_waitcnt lgkmcnt(10)
	v_lshrrev_b32_e32 v197, 16, v111
	s_waitcnt lgkmcnt(9)
	v_lshrrev_b32_e32 v201, 16, v113
	v_lshrrev_b32_e32 v195, 16, v110
	;; [unrolled: 1-line block ×3, first 2 shown]
	v_fmac_f16_e32 v127, 0x34f2, v191
	v_fmac_f16_e32 v140, 0x34f2, v193
	s_waitcnt vmcnt(1)
	v_mul_f16_sdwa v114, v94, v62 dst_sel:DWORD dst_unused:UNUSED_PAD src0_sel:DWORD src1_sel:WORD_1
	v_mul_f16_sdwa v74, v70, v60 dst_sel:DWORD dst_unused:UNUSED_PAD src0_sel:DWORD src1_sel:WORD_1
	;; [unrolled: 1-line block ×4, first 2 shown]
	v_fma_f16 v114, v66, v62, -v114
	v_mul_f16_sdwa v66, v66, v62 dst_sel:DWORD dst_unused:UNUSED_PAD src0_sel:DWORD src1_sel:WORD_1
	v_fma_f16 v74, v64, v60, -v74
	v_mul_f16_sdwa v64, v64, v60 dst_sel:DWORD dst_unused:UNUSED_PAD src0_sel:DWORD src1_sel:WORD_1
	s_waitcnt vmcnt(0) lgkmcnt(8)
	v_mul_f16_sdwa v125, v117, v58 dst_sel:DWORD dst_unused:UNUSED_PAD src0_sel:DWORD src1_sel:WORD_1
	v_mul_f16_sdwa v198, v197, v57 dst_sel:DWORD dst_unused:UNUSED_PAD src0_sel:DWORD src1_sel:WORD_1
	v_fmac_f16_e32 v66, v94, v62
	v_lshrrev_b32_e32 v94, 16, v117
	v_fmac_f16_e32 v64, v70, v60
	v_sub_f16_e32 v70, v186, v187
	v_mul_f16_sdwa v186, v108, v56 dst_sel:DWORD dst_unused:UNUSED_PAD src0_sel:DWORD src1_sel:WORD_1
	v_fma_f16 v198, v111, v57, -v198
	v_fmac_f16_e32 v125, v94, v58
	v_mul_f16_sdwa v94, v94, v58 dst_sel:DWORD dst_unused:UNUSED_PAD src0_sel:DWORD src1_sel:WORD_1
	v_mul_f16_sdwa v202, v201, v59 dst_sel:DWORD dst_unused:UNUSED_PAD src0_sel:DWORD src1_sel:WORD_1
	v_fmac_f16_e32 v186, v126, v56
	v_mul_f16_sdwa v126, v126, v56 dst_sel:DWORD dst_unused:UNUSED_PAD src0_sel:DWORD src1_sel:WORD_1
	v_fma_f16 v196, v110, v61, -v196
	v_fma_f16 v117, v117, v58, -v94
	;; [unrolled: 1-line block ×3, first 2 shown]
	v_mul_f16_sdwa v110, v110, v61 dst_sel:DWORD dst_unused:UNUSED_PAD src0_sel:DWORD src1_sel:WORD_1
	v_fma_f16 v108, v108, v56, -v126
	v_mul_f16_sdwa v111, v111, v57 dst_sel:DWORD dst_unused:UNUSED_PAD src0_sel:DWORD src1_sel:WORD_1
	v_add_f16_e32 v94, v198, v117
	v_mul_f16_sdwa v113, v113, v59 dst_sel:DWORD dst_unused:UNUSED_PAD src0_sel:DWORD src1_sel:WORD_1
	v_fmac_f16_e32 v110, v195, v61
	v_lshrrev_b32_e32 v187, 16, v68
	v_fmac_f16_e32 v111, v197, v57
	v_fma_f16 v126, -0.5, v94, v68
	v_add_f16_e32 v94, v108, v202
	v_add_f16_e32 v188, v68, v108
	v_sub_f16_e32 v195, v117, v202
	v_fmac_f16_e32 v113, v201, v59
	v_fma_f16 v200, v112, v63, -v200
	v_fmac_f16_e32 v68, -0.5, v94
	v_sub_f16_e32 v94, v198, v108
	v_mul_f16_sdwa v112, v112, v63 dst_sel:DWORD dst_unused:UNUSED_PAD src0_sel:DWORD src1_sel:WORD_1
	v_sub_f16_e32 v203, v111, v125
	v_sub_f16_e32 v205, v198, v117
	;; [unrolled: 1-line block ×3, first 2 shown]
	v_add_f16_e32 v195, v94, v195
	v_add_f16_e32 v94, v111, v125
	v_fmac_f16_e32 v112, v199, v63
	v_add_f16_e32 v199, v187, v186
	v_fmamk_f16 v204, v203, 0xbb9c, v68
	v_fmac_f16_e32 v68, 0x3b9c, v203
	v_fma_f16 v197, -0.5, v94, v187
	v_add_f16_e32 v94, v186, v113
	v_sub_f16_e32 v207, v186, v113
	v_sub_f16_e32 v208, v108, v202
	v_add_f16_e32 v209, v74, v200
	v_add_f16_e32 v65, v70, v65
	v_fmac_f16_e32 v187, -0.5, v94
	v_sub_f16_e32 v94, v111, v186
	v_fmac_f16_e32 v68, 0xb8b4, v207
	v_add_f16_e32 v70, v123, v124
	v_fmamk_f16 v123, v189, 0x3b9c, v190
	v_fmamk_f16 v206, v205, 0x3b9c, v187
	v_fmac_f16_e32 v187, 0xbb9c, v205
	v_add_f16_e32 v201, v94, v201
	v_add_f16_e32 v94, v196, v114
	v_fmac_f16_e32 v68, 0x34f2, v195
	v_fmac_f16_e32 v190, 0xbb9c, v189
	;; [unrolled: 1-line block ×3, first 2 shown]
	v_fma_f16 v209, -0.5, v209, v67
	v_fma_f16 v94, -0.5, v94, v67
	v_fmac_f16_e32 v123, 0x38b4, v128
	v_fmac_f16_e32 v190, 0xb8b4, v128
	;; [unrolled: 1-line block ×3, first 2 shown]
	v_fmamk_f16 v124, v194, 0xbb9c, v192
	v_fmac_f16_e32 v192, 0x3b9c, v194
	v_fmac_f16_e32 v123, 0x34f2, v65
	;; [unrolled: 1-line block ×3, first 2 shown]
	v_pack_b32_f16 v68, v68, v187
	v_lshrrev_b32_e32 v187, 16, v67
	v_add_f16_e32 v67, v67, v74
	v_fmac_f16_e32 v124, 0xb8b4, v184
	v_fmac_f16_e32 v192, 0x38b4, v184
	v_sub_f16_e32 v128, v196, v114
	v_fmac_f16_e32 v204, 0x38b4, v207
	v_add_f16_e32 v65, v67, v196
	v_add_f16_e32 v67, v187, v64
	v_fmac_f16_e32 v124, 0x34f2, v70
	v_fmac_f16_e32 v192, 0x34f2, v70
	v_pack_b32_f16 v70, v127, v140
	v_add_f16_e32 v65, v65, v114
	v_add_f16_e32 v67, v67, v110
	;; [unrolled: 1-line block ×3, first 2 shown]
	v_fmac_f16_e32 v204, 0x34f2, v195
	v_fmac_f16_e32 v206, 0xb8b4, v208
	v_add_f16_e32 v65, v65, v200
	v_add_f16_e32 v67, v67, v66
	;; [unrolled: 1-line block ×3, first 2 shown]
	v_fmac_f16_e32 v206, 0x34f2, v201
	v_add_f16_e32 v67, v67, v112
	v_add_f16_e32 v127, v127, v113
	v_pack_b32_f16 v65, v65, v67
	v_pack_b32_f16 v67, v123, v124
	v_add_f16_e32 v124, v188, v198
	v_pack_b32_f16 v123, v190, v192
	s_waitcnt lgkmcnt(6)
	v_lshrrev_b32_e32 v188, 16, v121
	v_add_f16_e32 v124, v124, v117
	v_add_f16_e32 v124, v124, v202
	v_pack_b32_f16 v124, v124, v127
	ds_write_b32 v169, v67 offset:544
	ds_write_b32 v169, v70 offset:1020
	;; [unrolled: 1-line block ×4, first 2 shown]
	ds_write2_b32 v129, v65, v124 offset0:34 offset1:51
	v_sub_f16_e32 v65, v108, v198
	v_sub_f16_e32 v69, v186, v111
	;; [unrolled: 1-line block ×8, first 2 shown]
	v_add_f16_e32 v108, v108, v111
	v_sub_f16_e32 v111, v64, v110
	v_sub_f16_e32 v127, v74, v200
	;; [unrolled: 1-line block ×3, first 2 shown]
	v_add_f16_e32 v117, v69, v70
	v_fmamk_f16 v69, v208, 0xbb9c, v197
	v_add_f16_e32 v111, v111, v113
	v_add_f16_e32 v113, v65, v67
	;; [unrolled: 1-line block ×3, first 2 shown]
	v_sub_f16_e32 v66, v66, v112
	v_fmac_f16_e32 v69, 0xb8b4, v205
	v_lshrrev_b32_e32 v186, 16, v118
	v_fmac_f16_e32 v197, 0x3b9c, v208
	v_fma_f16 v123, -0.5, v65, v187
	v_fmamk_f16 v65, v124, 0x3b9c, v94
	v_fmac_f16_e32 v69, 0x34f2, v117
	v_fmac_f16_e32 v94, 0xbb9c, v124
	v_fmac_f16_e32 v197, 0x38b4, v205
	v_fmamk_f16 v67, v127, 0xbb9c, v123
	v_fmac_f16_e32 v65, 0x38b4, v125
	v_fmac_f16_e32 v123, 0x3b9c, v127
	;; [unrolled: 1-line block ×10, first 2 shown]
	v_pack_b32_f16 v65, v65, v67
	v_fmamk_f16 v67, v207, 0x3b9c, v126
	v_fmac_f16_e32 v126, 0xbb9c, v207
	v_pack_b32_f16 v94, v94, v123
	v_fmac_f16_e32 v67, 0x38b4, v203
	v_fmac_f16_e32 v126, 0xb8b4, v203
	;; [unrolled: 1-line block ×4, first 2 shown]
	v_pack_b32_f16 v67, v67, v69
	v_sub_f16_e32 v69, v110, v64
	v_add_f16_e32 v64, v64, v112
	ds_write2_b32 v129, v65, v67 offset0:153 offset1:170
	v_sub_f16_e32 v65, v196, v74
	v_fmac_f16_e32 v187, -0.5, v64
	v_sub_f16_e32 v67, v114, v200
	v_fmamk_f16 v114, v125, 0xbb9c, v209
	v_fmac_f16_e32 v209, 0x3b9c, v125
	v_add_f16_e32 v112, v69, v66
	v_fmamk_f16 v140, v128, 0x3b9c, v187
	v_fmac_f16_e32 v187, 0xbb9c, v128
	v_add_f16_e32 v110, v65, v67
	v_fmac_f16_e32 v209, 0xb8b4, v124
	v_lshlrev_b32_e32 v65, 4, v71
	v_lshrrev_b32_e32 v74, 16, v109
	v_fmac_f16_e32 v187, 0x38b4, v127
	v_fmac_f16_e32 v114, 0x38b4, v124
	;; [unrolled: 1-line block ×7, first 2 shown]
	v_pack_b32_f16 v64, v209, v187
	ds_write2_b32 v115, v64, v68 offset0:135 offset1:152
	v_add_nc_u32_e32 v64, 0x550, v75
	s_clause 0x1
	global_load_dwordx4 v[68:71], v65, s[2:3] offset:448
	global_load_dwordx4 v[64:67], v64, s[2:3] offset:448
	s_waitcnt vmcnt(1)
	v_mul_f16_sdwa v184, v74, v68 dst_sel:DWORD dst_unused:UNUSED_PAD src0_sel:DWORD src1_sel:WORD_1
	v_mul_f16_sdwa v187, v186, v70 dst_sel:DWORD dst_unused:UNUSED_PAD src0_sel:DWORD src1_sel:WORD_1
	;; [unrolled: 1-line block ×3, first 2 shown]
	v_fma_f16 v184, v109, v68, -v184
	v_mul_f16_sdwa v109, v109, v68 dst_sel:DWORD dst_unused:UNUSED_PAD src0_sel:DWORD src1_sel:WORD_1
	v_fma_f16 v187, v118, v70, -v187
	v_mul_f16_sdwa v118, v118, v70 dst_sel:DWORD dst_unused:UNUSED_PAD src0_sel:DWORD src1_sel:WORD_1
	v_fmac_f16_e32 v189, v188, v71
	v_mul_f16_sdwa v188, v188, v71 dst_sel:DWORD dst_unused:UNUSED_PAD src0_sel:DWORD src1_sel:WORD_1
	v_fmac_f16_e32 v109, v74, v68
	v_lshrrev_b32_e32 v74, 16, v119
	v_fmac_f16_e32 v118, v186, v70
	v_mul_f16_sdwa v186, v119, v69 dst_sel:DWORD dst_unused:UNUSED_PAD src0_sel:DWORD src1_sel:WORD_1
	v_add_f16_e32 v191, v109, v189
	v_sub_f16_e32 v196, v109, v189
	v_sub_f16_e32 v193, v118, v189
	v_fmac_f16_e32 v186, v74, v69
	v_mul_f16_sdwa v74, v74, v69 dst_sel:DWORD dst_unused:UNUSED_PAD src0_sel:DWORD src1_sel:WORD_1
	v_add_f16_e32 v190, v186, v118
	v_fma_f16 v74, v119, v69, -v74
	v_fma_f16 v119, v121, v71, -v188
	v_sub_f16_e32 v195, v186, v118
	v_sub_f16_e32 v121, v74, v184
	;; [unrolled: 1-line block ×3, first 2 shown]
	v_add_f16_e32 v194, v184, v119
	v_sub_f16_e32 v199, v74, v187
	v_sub_f16_e32 v200, v184, v119
	;; [unrolled: 1-line block ×3, first 2 shown]
	v_add_f16_e32 v121, v121, v188
	v_lshrrev_b32_e32 v188, 16, v72
	v_fma_f16 v194, -0.5, v194, v72
	v_sub_f16_e32 v117, v119, v187
	v_fma_f16 v190, -0.5, v190, v188
	v_add_f16_e32 v192, v188, v109
	v_fmac_f16_e32 v188, -0.5, v191
	v_sub_f16_e32 v191, v186, v109
	v_fmamk_f16 v198, v195, 0xbb9c, v194
	v_add_f16_e32 v113, v113, v117
	v_sub_f16_e32 v109, v109, v186
	v_fmamk_f16 v201, v199, 0x3b9c, v188
	v_add_f16_e32 v191, v191, v193
	v_fmac_f16_e32 v198, 0x38b4, v196
	v_sub_f16_e32 v117, v189, v118
	v_pack_b32_f16 v193, v204, v206
	v_fmac_f16_e32 v201, 0xb8b4, v200
	v_fmac_f16_e32 v194, 0x3b9c, v195
	;; [unrolled: 1-line block ×3, first 2 shown]
	v_add_f16_e32 v109, v109, v117
	v_pack_b32_f16 v117, v126, v197
	v_fmac_f16_e32 v201, 0x34f2, v191
	v_add_f16_e32 v126, v74, v187
	v_fmamk_f16 v197, v200, 0xbb9c, v190
	v_fmac_f16_e32 v190, 0x3b9c, v200
	v_fmac_f16_e32 v188, 0xbb9c, v199
	v_pack_b32_f16 v198, v198, v201
	v_fma_f16 v126, -0.5, v126, v72
	v_add_f16_e32 v72, v72, v184
	v_fmac_f16_e32 v190, 0x38b4, v199
	v_fmac_f16_e32 v197, 0xb8b4, v199
	ds_write2_b32 v115, v193, v198 offset0:33 offset1:50
	v_fmamk_f16 v193, v196, 0x3b9c, v126
	v_fmac_f16_e32 v126, 0xbb9c, v196
	v_fmac_f16_e32 v190, 0x34f2, v109
	v_add_f16_e32 v72, v72, v74
	v_add_f16_e32 v74, v192, v186
	v_fmac_f16_e32 v193, 0x38b4, v195
	v_fmac_f16_e32 v126, 0xb8b4, v195
	;; [unrolled: 1-line block ×3, first 2 shown]
	v_add_f16_e32 v72, v72, v187
	v_add_f16_e32 v74, v74, v118
	v_lshrrev_b32_e32 v118, 16, v122
	v_fmac_f16_e32 v126, 0x34f2, v113
	v_fmac_f16_e32 v193, 0x34f2, v113
	v_add_f16_e32 v72, v72, v119
	v_add_f16_e32 v74, v74, v189
	s_waitcnt vmcnt(0)
	v_mul_f16_sdwa v184, v118, v67 dst_sel:DWORD dst_unused:UNUSED_PAD src0_sel:DWORD src1_sel:WORD_1
	v_pack_b32_f16 v126, v126, v190
	s_waitcnt lgkmcnt(13)
	v_mul_f16_sdwa v119, v98, v66 dst_sel:DWORD dst_unused:UNUSED_PAD src0_sel:DWORD src1_sel:WORD_1
	v_fmac_f16_e32 v194, 0xb8b4, v196
	v_pack_b32_f16 v72, v72, v74
	v_fma_f16 v184, v122, v67, -v184
	ds_write2_b32 v116, v117, v126 offset0:15 offset1:32
	v_lshrrev_b32_e32 v117, 16, v120
	v_mul_f16_sdwa v122, v122, v67 dst_sel:DWORD dst_unused:UNUSED_PAD src0_sel:DWORD src1_sel:WORD_1
	v_lshrrev_b32_e32 v74, 16, v96
	v_fmac_f16_e32 v188, 0x38b4, v200
	v_fmac_f16_e32 v194, 0x34f2, v121
	v_mul_f16_sdwa v126, v117, v65 dst_sel:DWORD dst_unused:UNUSED_PAD src0_sel:DWORD src1_sel:WORD_1
	v_fmac_f16_e32 v122, v118, v67
	v_lshrrev_b32_e32 v118, 16, v98
	v_fmac_f16_e32 v188, 0x34f2, v191
	v_fma_f16 v126, v120, v65, -v126
	v_mul_f16_sdwa v120, v120, v65 dst_sel:DWORD dst_unused:UNUSED_PAD src0_sel:DWORD src1_sel:WORD_1
	v_fmac_f16_e32 v119, v118, v66
	v_mul_f16_sdwa v118, v118, v66 dst_sel:DWORD dst_unused:UNUSED_PAD src0_sel:DWORD src1_sel:WORD_1
	v_pack_b32_f16 v121, v194, v188
	v_lshrrev_b32_e32 v188, 16, v93
	v_fmac_f16_e32 v120, v117, v65
	v_mul_f16_sdwa v117, v96, v64 dst_sel:DWORD dst_unused:UNUSED_PAD src0_sel:DWORD src1_sel:WORD_1
	v_sub_f16_e32 v109, v122, v119
	v_add_f16_e32 v190, v120, v119
	v_fmac_f16_e32 v117, v74, v64
	v_mul_f16_sdwa v74, v74, v64 dst_sel:DWORD dst_unused:UNUSED_PAD src0_sel:DWORD src1_sel:WORD_1
	v_sub_f16_e32 v189, v120, v119
	v_fma_f16 v74, v96, v64, -v74
	v_fma_f16 v96, v98, v66, -v118
	v_lshrrev_b32_e32 v118, 16, v73
	v_add_f16_e32 v98, v73, v74
	v_add_f16_e32 v113, v126, v96
	;; [unrolled: 1-line block ×3, first 2 shown]
	v_fma_f16 v190, -0.5, v190, v118
	v_sub_f16_e32 v192, v74, v184
	v_add_f16_e32 v98, v98, v126
	v_fma_f16 v113, -0.5, v113, v73
	v_add_f16_e32 v186, v186, v120
	v_add_f16_e32 v98, v98, v96
	;; [unrolled: 1-line block ×3, first 2 shown]
	v_sub_f16_e32 v119, v119, v122
	v_add_f16_e32 v98, v98, v184
	v_add_f16_e32 v186, v186, v122
	v_pack_b32_f16 v98, v98, v186
	v_sub_f16_e32 v186, v117, v122
	ds_write2_b32 v129, v72, v98 offset0:68 offset1:85
	v_sub_f16_e32 v72, v74, v126
	v_sub_f16_e32 v98, v184, v96
	v_fmamk_f16 v187, v186, 0x3b9c, v113
	v_fmac_f16_e32 v113, 0xbb9c, v186
	v_add_f16_e32 v98, v72, v98
	v_sub_f16_e32 v72, v117, v120
	v_fmac_f16_e32 v187, 0x38b4, v189
	v_sub_f16_e32 v120, v120, v117
	v_add_f16_e32 v117, v117, v122
	v_lshrrev_b32_e32 v122, 16, v95
	v_add_f16_e32 v109, v72, v109
	v_pack_b32_f16 v72, v193, v197
	v_fmamk_f16 v193, v192, 0xbb9c, v190
	v_sub_f16_e32 v197, v126, v96
	v_fmac_f16_e32 v187, 0x34f2, v98
	v_fmac_f16_e32 v118, -0.5, v117
	v_sub_f16_e32 v96, v96, v184
	v_add_f16_e32 v117, v120, v119
	v_fmac_f16_e32 v193, 0xb8b4, v197
	v_fmac_f16_e32 v113, 0xb8b4, v189
	v_fmamk_f16 v120, v197, 0x3b9c, v118
	v_fmac_f16_e32 v118, 0xbb9c, v197
	v_fmac_f16_e32 v190, 0x3b9c, v192
	v_fmac_f16_e32 v193, 0x34f2, v109
	v_fmac_f16_e32 v113, 0x34f2, v98
	v_fmac_f16_e32 v120, 0xb8b4, v192
	v_fmac_f16_e32 v118, 0x38b4, v192
	v_fmac_f16_e32 v190, 0x38b4, v197
	v_pack_b32_f16 v187, v187, v193
	v_fmac_f16_e32 v120, 0x34f2, v117
	v_fmac_f16_e32 v118, 0x34f2, v117
	;; [unrolled: 1-line block ×3, first 2 shown]
	ds_write2_b32 v129, v72, v187 offset0:187 offset1:204
	v_sub_f16_e32 v72, v126, v74
	v_add_f16_e32 v74, v74, v184
	v_lshrrev_b32_e32 v184, 16, v99
	v_add_f16_e32 v96, v72, v96
	v_fmac_f16_e32 v73, -0.5, v74
	v_add_nc_u32_e32 v72, 0x660, v75
	v_fmamk_f16 v119, v189, 0xbb9c, v73
	v_fmac_f16_e32 v73, 0x3b9c, v189
	v_fmac_f16_e32 v119, 0x38b4, v186
	;; [unrolled: 1-line block ×5, first 2 shown]
	v_pack_b32_f16 v118, v73, v118
	global_load_dwordx4 v[72:75], v72, s[2:3] offset:448
	s_add_u32 s2, s0, 0x94c
	s_addc_u32 s3, s1, 0
	ds_write2_b32 v115, v121, v118 offset0:169 offset1:186
	v_lshrrev_b32_e32 v118, 16, v97
	s_waitcnt vmcnt(0)
	v_mul_f16_sdwa v121, v118, v72 dst_sel:DWORD dst_unused:UNUSED_PAD src0_sel:DWORD src1_sel:WORD_1
	v_mul_f16_sdwa v126, v122, v73 dst_sel:DWORD dst_unused:UNUSED_PAD src0_sel:DWORD src1_sel:WORD_1
	;; [unrolled: 1-line block ×3, first 2 shown]
	v_fma_f16 v121, v97, v72, -v121
	v_mul_f16_sdwa v97, v97, v72 dst_sel:DWORD dst_unused:UNUSED_PAD src0_sel:DWORD src1_sel:WORD_1
	v_fma_f16 v126, v95, v73, -v126
	v_mul_f16_sdwa v95, v95, v73 dst_sel:DWORD dst_unused:UNUSED_PAD src0_sel:DWORD src1_sel:WORD_1
	;; [unrolled: 2-line block ×3, first 2 shown]
	v_fmac_f16_e32 v97, v118, v72
	v_lshrrev_b32_e32 v118, 16, v107
	v_fmac_f16_e32 v95, v122, v73
	v_add_f16_e32 v191, v93, v121
	v_fmac_f16_e32 v99, v184, v74
	v_add_f16_e32 v195, v188, v97
	v_mul_f16_sdwa v122, v118, v75 dst_sel:DWORD dst_unused:UNUSED_PAD src0_sel:DWORD src1_sel:WORD_1
	v_sub_f16_e32 v98, v121, v126
	v_sub_f16_e32 v200, v126, v187
	v_add_f16_e32 v96, v191, v126
	v_fma_f16 v122, v107, v75, -v122
	v_mul_f16_sdwa v107, v107, v75 dst_sel:DWORD dst_unused:UNUSED_PAD src0_sel:DWORD src1_sel:WORD_1
	v_add_f16_e32 v96, v96, v187
	v_add_f16_e32 v184, v121, v122
	v_fmac_f16_e32 v107, v118, v75
	v_add_f16_e32 v118, v126, v187
	v_sub_f16_e32 v193, v187, v122
	v_sub_f16_e32 v108, v122, v187
	;; [unrolled: 1-line block ×3, first 2 shown]
	v_add_f16_e32 v194, v97, v107
	v_fma_f16 v118, -0.5, v118, v93
	v_fmac_f16_e32 v93, -0.5, v184
	v_sub_f16_e32 v184, v126, v121
	v_sub_f16_e32 v196, v99, v107
	;; [unrolled: 1-line block ×3, first 2 shown]
	v_add_f16_e32 v98, v98, v108
	v_add_f16_e32 v96, v96, v122
	;; [unrolled: 1-line block ×4, first 2 shown]
	v_fmamk_f16 v110, v199, 0x3b9c, v118
	v_fmac_f16_e32 v118, 0xbb9c, v199
	v_fma_f16 v193, -0.5, v193, v188
	v_fmac_f16_e32 v188, -0.5, v194
	v_sub_f16_e32 v194, v95, v97
	v_fmamk_f16 v108, v202, 0xbb9c, v193
	v_fmamk_f16 v201, v200, 0x3b9c, v188
	v_add_f16_e32 v194, v194, v196
	v_sub_f16_e32 v196, v95, v99
	v_fmac_f16_e32 v188, 0xbb9c, v200
	v_fmac_f16_e32 v193, 0x3b9c, v202
	;; [unrolled: 1-line block ×6, first 2 shown]
	v_fmamk_f16 v198, v196, 0xbb9c, v93
	v_fmac_f16_e32 v93, 0x3b9c, v196
	v_fmac_f16_e32 v188, 0x38b4, v202
	;; [unrolled: 1-line block ×4, first 2 shown]
	v_add_f16_e32 v98, v195, v95
	v_sub_f16_e32 v95, v97, v95
	v_sub_f16_e32 v97, v107, v99
	v_fmac_f16_e32 v198, 0x38b4, v199
	v_fmac_f16_e32 v93, 0xb8b4, v199
	v_add_f16_e32 v98, v98, v99
	v_fmac_f16_e32 v193, 0x38b4, v200
	v_add_f16_e32 v95, v95, v97
	v_fmac_f16_e32 v198, 0x34f2, v184
	v_fmac_f16_e32 v201, 0x34f2, v194
	v_add_f16_e32 v97, v98, v107
	v_fmac_f16_e32 v93, 0x34f2, v184
	v_fmac_f16_e32 v108, 0x34f2, v95
	;; [unrolled: 1-line block ×4, first 2 shown]
	v_pack_b32_f16 v95, v114, v140
	v_pack_b32_f16 v96, v96, v97
	v_pack_b32_f16 v99, v110, v108
	v_add_nc_u32_e32 v97, 0x200, v129
	v_pack_b32_f16 v98, v119, v120
	v_pack_b32_f16 v107, v198, v201
	;; [unrolled: 1-line block ×4, first 2 shown]
	ds_write_b32 v129, v96 offset:408
	v_pack_b32_f16 v96, v118, v193
	ds_write2_b32 v97, v99, v95 offset0:93 offset1:144
	ds_write2_b32 v115, v98, v107 offset0:67 offset1:84
	;; [unrolled: 1-line block ×3, first 2 shown]
	v_lshlrev_b32_e32 v95, 2, v163
	ds_write2_b32 v116, v108, v96 offset0:49 offset1:66
	s_waitcnt lgkmcnt(0)
	s_barrier
	buffer_gl0_inv
	s_clause 0x5
	global_load_dword v96, v95, s[2:3]
	global_load_dword v109, v95, s[2:3] offset:68
	global_load_dword v108, v95, s[2:3] offset:680
	;; [unrolled: 1-line block ×5, first 2 shown]
	v_add_co_u32 v93, s0, s2, v95
	v_add_co_ci_u32_e64 v94, null, s3, 0, s0
	global_load_dword v111, v95, s[2:3] offset:2040
	v_add_co_u32 v93, s0, 0x800, v93
	v_add_co_ci_u32_e64 v94, s0, 0, v94, s0
	s_clause 0x2
	global_load_dword v107, v[93:94], off offset:60
	global_load_dword v98, v95, s[2:3] offset:408
	global_load_dword v112, v95, s[2:3] offset:476
	ds_read2_b32 v[118:119], v129 offset1:17
	ds_read2_b32 v[120:121], v129 offset0:170 offset1:187
	ds_read2_b32 v[122:123], v115 offset0:84 offset1:101
	s_clause 0xa
	global_load_dword v113, v95, s[2:3] offset:1088
	global_load_dword v117, v95, s[2:3] offset:1156
	;; [unrolled: 1-line block ×5, first 2 shown]
	global_load_dword v105, v86, s[2:3]
	global_load_dword v128, v95, s[2:3] offset:816
	global_load_dword v140, v95, s[2:3] offset:884
	;; [unrolled: 1-line block ×5, first 2 shown]
	s_waitcnt lgkmcnt(2)
	v_lshrrev_b32_e32 v127, 16, v118
	v_lshrrev_b32_e32 v186, 16, v119
	s_waitcnt lgkmcnt(1)
	v_lshrrev_b32_e32 v190, 16, v120
	s_waitcnt vmcnt(20)
	v_mul_f16_sdwa v187, v118, v96 dst_sel:DWORD dst_unused:UNUSED_PAD src0_sel:DWORD src1_sel:WORD_1
	v_mul_f16_sdwa v189, v127, v96 dst_sel:DWORD dst_unused:UNUSED_PAD src0_sel:DWORD src1_sel:WORD_1
	s_waitcnt vmcnt(19)
	v_mul_f16_sdwa v191, v186, v109 dst_sel:DWORD dst_unused:UNUSED_PAD src0_sel:DWORD src1_sel:WORD_1
	v_fmac_f16_e32 v187, v127, v96
	v_mul_f16_sdwa v127, v119, v109 dst_sel:DWORD dst_unused:UNUSED_PAD src0_sel:DWORD src1_sel:WORD_1
	v_fma_f16 v96, v118, v96, -v189
	v_lshrrev_b32_e32 v118, 16, v121
	v_fma_f16 v119, v119, v109, -v191
	s_waitcnt vmcnt(18)
	v_mul_f16_sdwa v189, v120, v108 dst_sel:DWORD dst_unused:UNUSED_PAD src0_sel:DWORD src1_sel:WORD_1
	v_mul_f16_sdwa v191, v190, v108 dst_sel:DWORD dst_unused:UNUSED_PAD src0_sel:DWORD src1_sel:WORD_1
	v_fmac_f16_e32 v127, v186, v109
	s_waitcnt vmcnt(17)
	v_mul_f16_sdwa v109, v118, v99 dst_sel:DWORD dst_unused:UNUSED_PAD src0_sel:DWORD src1_sel:WORD_1
	global_load_dword v186, v95, s[2:3] offset:1496
	v_fmac_f16_e32 v189, v190, v108
	v_mul_f16_sdwa v190, v121, v99 dst_sel:DWORD dst_unused:UNUSED_PAD src0_sel:DWORD src1_sel:WORD_1
	v_fma_f16 v120, v120, v108, -v191
	s_waitcnt lgkmcnt(0)
	v_lshrrev_b32_e32 v108, 16, v122
	v_fma_f16 v121, v121, v99, -v109
	v_pack_b32_f16 v96, v96, v187
	v_fmac_f16_e32 v190, v118, v99
	s_waitcnt vmcnt(17)
	v_mul_f16_sdwa v99, v122, v110 dst_sel:DWORD dst_unused:UNUSED_PAD src0_sel:DWORD src1_sel:WORD_1
	v_mul_f16_sdwa v109, v108, v110 dst_sel:DWORD dst_unused:UNUSED_PAD src0_sel:DWORD src1_sel:WORD_1
	v_lshrrev_b32_e32 v118, 16, v123
	v_fmac_f16_e32 v99, v108, v110
	v_fma_f16 v110, v122, v110, -v109
	global_load_dword v122, v95, s[2:3] offset:1768
	s_waitcnt vmcnt(17)
	v_mul_f16_sdwa v108, v118, v114 dst_sel:DWORD dst_unused:UNUSED_PAD src0_sel:DWORD src1_sel:WORD_1
	global_load_dword v191, v95, s[2:3] offset:1292
	v_pack_b32_f16 v99, v110, v99
	v_fma_f16 v192, v123, v114, -v108
	v_mul_f16_sdwa v123, v123, v114 dst_sel:DWORD dst_unused:UNUSED_PAD src0_sel:DWORD src1_sel:WORD_1
	v_fmac_f16_e32 v123, v118, v114
	s_clause 0x1
	global_load_dword v114, v95, s[2:3] offset:1564
	global_load_dword v194, v[93:94], off offset:196
	ds_read2_b32 v[108:109], v106 offset0:126 offset1:143
	v_pack_b32_f16 v118, v119, v127
	ds_write2_b32 v129, v96, v118 offset1:17
	s_clause 0x1
	global_load_dword v127, v95, s[2:3] offset:340
	global_load_dword v187, v95, s[2:3] offset:544
	ds_read2_b32 v[118:119], v129 offset0:102 offset1:119
	v_pack_b32_f16 v96, v120, v189
	v_pack_b32_f16 v120, v121, v190
	;; [unrolled: 1-line block ×3, first 2 shown]
	ds_write2_b32 v129, v96, v120 offset0:170 offset1:187
	global_load_dword v120, v95, s[2:3] offset:1972
	ds_write2_b32 v115, v99, v121 offset0:84 offset1:101
	global_load_dword v121, v95, s[2:3] offset:1224
	s_waitcnt lgkmcnt(4)
	v_lshrrev_b32_e32 v110, 16, v108
	s_waitcnt vmcnt(23)
	v_mul_f16_sdwa v96, v108, v111 dst_sel:DWORD dst_unused:UNUSED_PAD src0_sel:DWORD src1_sel:WORD_1
	v_lshrrev_b32_e32 v99, 16, v109
	v_mul_f16_sdwa v123, v110, v111 dst_sel:DWORD dst_unused:UNUSED_PAD src0_sel:DWORD src1_sel:WORD_1
	v_fmac_f16_e32 v96, v110, v111
	global_load_dword v110, v[93:94], off offset:264
	s_waitcnt vmcnt(23)
	v_mul_f16_sdwa v94, v109, v107 dst_sel:DWORD dst_unused:UNUSED_PAD src0_sel:DWORD src1_sel:WORD_1
	v_mul_f16_sdwa v93, v99, v107 dst_sel:DWORD dst_unused:UNUSED_PAD src0_sel:DWORD src1_sel:WORD_1
	v_fma_f16 v108, v108, v111, -v123
	v_fmac_f16_e32 v94, v99, v107
	s_waitcnt lgkmcnt(2)
	v_lshrrev_b32_e32 v99, 16, v118
	v_fma_f16 v93, v109, v107, -v93
	s_waitcnt vmcnt(22)
	v_mul_f16_sdwa v107, v118, v98 dst_sel:DWORD dst_unused:UNUSED_PAD src0_sel:DWORD src1_sel:WORD_1
	v_lshrrev_b32_e32 v109, 16, v119
	v_mul_f16_sdwa v123, v99, v98 dst_sel:DWORD dst_unused:UNUSED_PAD src0_sel:DWORD src1_sel:WORD_1
	v_fmac_f16_e32 v107, v99, v98
	s_waitcnt vmcnt(21)
	v_mul_f16_sdwa v99, v109, v112 dst_sel:DWORD dst_unused:UNUSED_PAD src0_sel:DWORD src1_sel:WORD_1
	v_fma_f16 v98, v118, v98, -v123
	s_clause 0x3
	global_load_dword v118, v95, s[2:3] offset:1904
	global_load_dword v111, v95, s[2:3] offset:1020
	;; [unrolled: 1-line block ×4, first 2 shown]
	v_pack_b32_f16 v95, v108, v96
	v_pack_b32_f16 v96, v93, v94
	ds_read2_b32 v[93:94], v115 offset0:16 offset1:33
	v_fma_f16 v99, v119, v112, -v99
	v_mul_f16_sdwa v119, v119, v112 dst_sel:DWORD dst_unused:UNUSED_PAD src0_sel:DWORD src1_sel:WORD_1
	v_pack_b32_f16 v98, v98, v107
	ds_write2_b32 v106, v95, v96 offset0:126 offset1:143
	v_fmac_f16_e32 v119, v109, v112
	v_pack_b32_f16 v99, v99, v119
	ds_write2_b32 v129, v98, v99 offset0:102 offset1:119
	s_waitcnt lgkmcnt(2)
	v_lshrrev_b32_e32 v95, 16, v93
	s_waitcnt vmcnt(24)
	v_mul_f16_sdwa v108, v93, v113 dst_sel:DWORD dst_unused:UNUSED_PAD src0_sel:DWORD src1_sel:WORD_1
	v_lshrrev_b32_e32 v96, 16, v94
	v_mul_f16_sdwa v109, v95, v113 dst_sel:DWORD dst_unused:UNUSED_PAD src0_sel:DWORD src1_sel:WORD_1
	v_fmac_f16_e32 v108, v95, v113
	s_waitcnt vmcnt(23)
	v_mul_f16_sdwa v95, v96, v117 dst_sel:DWORD dst_unused:UNUSED_PAD src0_sel:DWORD src1_sel:WORD_1
	v_fma_f16 v109, v93, v113, -v109
	v_mul_f16_sdwa v113, v94, v117 dst_sel:DWORD dst_unused:UNUSED_PAD src0_sel:DWORD src1_sel:WORD_1
	v_fma_f16 v112, v94, v117, -v95
	ds_read2_b32 v[93:94], v115 offset0:186 offset1:203
	v_pack_b32_f16 v98, v109, v108
	v_fmac_f16_e32 v113, v96, v117
	v_pack_b32_f16 v99, v112, v113
	s_waitcnt lgkmcnt(0)
	v_lshrrev_b32_e32 v95, 16, v93
	v_lshrrev_b32_e32 v96, 16, v94
	s_waitcnt vmcnt(14)
	v_mul_f16_sdwa v107, v96, v193 dst_sel:DWORD dst_unused:UNUSED_PAD src0_sel:DWORD src1_sel:WORD_1
	v_fma_f16 v107, v94, v193, -v107
	s_waitcnt vmcnt(12)
	v_mul_f16_sdwa v117, v93, v122 dst_sel:DWORD dst_unused:UNUSED_PAD src0_sel:DWORD src1_sel:WORD_1
	v_fmac_f16_e32 v117, v95, v122
	v_mul_f16_sdwa v95, v95, v122 dst_sel:DWORD dst_unused:UNUSED_PAD src0_sel:DWORD src1_sel:WORD_1
	v_fma_f16 v119, v93, v122, -v95
	v_mul_f16_sdwa v122, v94, v193 dst_sel:DWORD dst_unused:UNUSED_PAD src0_sel:DWORD src1_sel:WORD_1
	ds_read2_b32 v[93:94], v129 offset0:34 offset1:51
	v_pack_b32_f16 v108, v119, v117
	v_fmac_f16_e32 v122, v96, v193
	ds_read2_b32 v[95:96], v129 offset0:204 offset1:221
	v_pack_b32_f16 v107, v107, v122
	ds_write2_b32 v115, v98, v99 offset0:16 offset1:33
	ds_write2_b32 v115, v108, v107 offset0:186 offset1:203
	ds_read2_b32 v[98:99], v115 offset0:118 offset1:135
	s_waitcnt lgkmcnt(4)
	v_lshrrev_b32_e32 v109, 16, v93
	v_lshrrev_b32_e32 v113, 16, v94
	v_mul_f16_sdwa v112, v93, v124 dst_sel:DWORD dst_unused:UNUSED_PAD src0_sel:DWORD src1_sel:WORD_1
	v_mul_f16_sdwa v107, v109, v124 dst_sel:DWORD dst_unused:UNUSED_PAD src0_sel:DWORD src1_sel:WORD_1
	;; [unrolled: 1-line block ×3, first 2 shown]
	v_fmac_f16_e32 v112, v109, v124
	v_mul_f16_sdwa v109, v94, v125 dst_sel:DWORD dst_unused:UNUSED_PAD src0_sel:DWORD src1_sel:WORD_1
	s_waitcnt lgkmcnt(3)
	v_lshrrev_b32_e32 v117, 16, v95
	v_fma_f16 v107, v93, v124, -v107
	v_lshrrev_b32_e32 v119, 16, v96
	v_fma_f16 v108, v94, v125, -v108
	ds_read2_b32 v[93:94], v116 offset0:32 offset1:49
	v_fmac_f16_e32 v109, v113, v125
	v_mul_f16_sdwa v113, v95, v128 dst_sel:DWORD dst_unused:UNUSED_PAD src0_sel:DWORD src1_sel:WORD_1
	v_mul_f16_sdwa v122, v117, v128 dst_sel:DWORD dst_unused:UNUSED_PAD src0_sel:DWORD src1_sel:WORD_1
	;; [unrolled: 1-line block ×4, first 2 shown]
	v_pack_b32_f16 v107, v107, v112
	v_fmac_f16_e32 v113, v117, v128
	v_fma_f16 v95, v95, v128, -v122
	v_fma_f16 v96, v96, v140, -v124
	v_fmac_f16_e32 v125, v119, v140
	v_pack_b32_f16 v108, v108, v109
	s_waitcnt lgkmcnt(1)
	v_lshrrev_b32_e32 v109, 16, v98
	v_pack_b32_f16 v95, v95, v113
	v_lshrrev_b32_e32 v112, 16, v99
	v_pack_b32_f16 v96, v96, v125
	ds_write2_b32 v129, v107, v108 offset0:34 offset1:51
	v_mul_f16_sdwa v107, v98, v186 dst_sel:DWORD dst_unused:UNUSED_PAD src0_sel:DWORD src1_sel:WORD_1
	v_mul_f16_sdwa v108, v109, v186 dst_sel:DWORD dst_unused:UNUSED_PAD src0_sel:DWORD src1_sel:WORD_1
	s_waitcnt vmcnt(10)
	v_mul_f16_sdwa v113, v112, v114 dst_sel:DWORD dst_unused:UNUSED_PAD src0_sel:DWORD src1_sel:WORD_1
	ds_write2_b32 v129, v95, v96 offset0:204 offset1:221
	ds_read2_b32 v[95:96], v129 offset0:68 offset1:85
	v_fmac_f16_e32 v107, v109, v186
	s_waitcnt lgkmcnt(3)
	v_lshrrev_b32_e32 v109, 16, v93
	v_lshrrev_b32_e32 v117, 16, v94
	v_fma_f16 v108, v98, v186, -v108
	v_fma_f16 v113, v99, v114, -v113
	v_mul_f16_sdwa v119, v99, v114 dst_sel:DWORD dst_unused:UNUSED_PAD src0_sel:DWORD src1_sel:WORD_1
	v_mul_f16_sdwa v122, v93, v105 dst_sel:DWORD dst_unused:UNUSED_PAD src0_sel:DWORD src1_sel:WORD_1
	;; [unrolled: 1-line block ×3, first 2 shown]
	s_waitcnt vmcnt(9)
	v_mul_f16_sdwa v125, v117, v194 dst_sel:DWORD dst_unused:UNUSED_PAD src0_sel:DWORD src1_sel:WORD_1
	v_mul_f16_sdwa v128, v94, v194 dst_sel:DWORD dst_unused:UNUSED_PAD src0_sel:DWORD src1_sel:WORD_1
	ds_read2_b32 v[98:99], v129 offset0:136 offset1:153
	v_fmac_f16_e32 v119, v112, v114
	v_fmac_f16_e32 v122, v109, v105
	v_fma_f16 v93, v93, v105, -v124
	v_fma_f16 v94, v94, v194, -v125
	v_fmac_f16_e32 v128, v117, v194
	v_pack_b32_f16 v105, v108, v107
	v_pack_b32_f16 v107, v113, v119
	;; [unrolled: 1-line block ×3, first 2 shown]
	s_waitcnt lgkmcnt(1)
	v_lshrrev_b32_e32 v108, 16, v96
	v_pack_b32_f16 v94, v94, v128
	v_lshrrev_b32_e32 v109, 16, v95
	ds_write2_b32 v115, v105, v107 offset0:118 offset1:135
	s_waitcnt vmcnt(8)
	v_mul_f16_sdwa v105, v96, v127 dst_sel:DWORD dst_unused:UNUSED_PAD src0_sel:DWORD src1_sel:WORD_1
	v_mul_f16_sdwa v107, v108, v127 dst_sel:DWORD dst_unused:UNUSED_PAD src0_sel:DWORD src1_sel:WORD_1
	ds_write2_b32 v116, v93, v94 offset0:32 offset1:49
	ds_read2_b32 v[93:94], v129 offset0:238 offset1:255
	v_mul_f16_sdwa v112, v109, v126 dst_sel:DWORD dst_unused:UNUSED_PAD src0_sel:DWORD src1_sel:WORD_1
	v_fmac_f16_e32 v105, v108, v127
	v_fma_f16 v107, v96, v127, -v107
	s_waitcnt lgkmcnt(3)
	v_lshrrev_b32_e32 v108, 16, v98
	v_lshrrev_b32_e32 v113, 16, v99
	v_fma_f16 v112, v95, v126, -v112
	v_mul_f16_sdwa v114, v95, v126 dst_sel:DWORD dst_unused:UNUSED_PAD src0_sel:DWORD src1_sel:WORD_1
	s_waitcnt vmcnt(7)
	v_mul_f16_sdwa v117, v98, v187 dst_sel:DWORD dst_unused:UNUSED_PAD src0_sel:DWORD src1_sel:WORD_1
	v_mul_f16_sdwa v119, v108, v187 dst_sel:DWORD dst_unused:UNUSED_PAD src0_sel:DWORD src1_sel:WORD_1
	;; [unrolled: 1-line block ×4, first 2 shown]
	ds_read2_b32 v[95:96], v115 offset0:50 offset1:67
	v_fmac_f16_e32 v117, v108, v187
	v_fma_f16 v98, v98, v187, -v119
	v_fmac_f16_e32 v114, v109, v126
	v_fma_f16 v99, v99, v188, -v122
	v_fmac_f16_e32 v124, v113, v188
	v_pack_b32_f16 v105, v107, v105
	v_pack_b32_f16 v107, v98, v117
	;; [unrolled: 1-line block ×3, first 2 shown]
	s_waitcnt lgkmcnt(1)
	v_lshrrev_b32_e32 v109, 16, v94
	v_pack_b32_f16 v112, v99, v124
	ds_read2_b32 v[98:99], v115 offset0:152 offset1:169
	v_lshrrev_b32_e32 v113, 16, v93
	s_waitcnt vmcnt(2)
	v_mul_f16_sdwa v114, v94, v111 dst_sel:DWORD dst_unused:UNUSED_PAD src0_sel:DWORD src1_sel:WORD_1
	v_mul_f16_sdwa v117, v109, v111 dst_sel:DWORD dst_unused:UNUSED_PAD src0_sel:DWORD src1_sel:WORD_1
	ds_write2_b32 v129, v108, v105 offset0:68 offset1:85
	ds_write2_b32 v129, v107, v112 offset0:136 offset1:153
	v_mul_f16_sdwa v105, v113, v184 dst_sel:DWORD dst_unused:UNUSED_PAD src0_sel:DWORD src1_sel:WORD_1
	v_fmac_f16_e32 v114, v109, v111
	v_fma_f16 v107, v94, v111, -v117
	s_waitcnt lgkmcnt(3)
	v_lshrrev_b32_e32 v108, 16, v95
	v_mul_f16_sdwa v109, v93, v184 dst_sel:DWORD dst_unused:UNUSED_PAD src0_sel:DWORD src1_sel:WORD_1
	v_fma_f16 v105, v93, v184, -v105
	ds_read2_b32 v[93:94], v115 offset0:220 offset1:237
	ds_read_b32 v117, v129 offset:2312
	v_mul_f16_sdwa v111, v95, v121 dst_sel:DWORD dst_unused:UNUSED_PAD src0_sel:DWORD src1_sel:WORD_1
	v_mul_f16_sdwa v112, v108, v121 dst_sel:DWORD dst_unused:UNUSED_PAD src0_sel:DWORD src1_sel:WORD_1
	v_fmac_f16_e32 v109, v113, v184
	v_lshrrev_b32_e32 v113, 16, v96
	v_mul_f16_sdwa v119, v96, v191 dst_sel:DWORD dst_unused:UNUSED_PAD src0_sel:DWORD src1_sel:WORD_1
	v_fmac_f16_e32 v111, v108, v121
	v_fma_f16 v95, v95, v121, -v112
	s_waitcnt lgkmcnt(4)
	v_lshrrev_b32_e32 v108, 16, v99
	s_waitcnt vmcnt(1)
	v_mul_f16_sdwa v121, v99, v123 dst_sel:DWORD dst_unused:UNUSED_PAD src0_sel:DWORD src1_sel:WORD_1
	v_lshrrev_b32_e32 v122, 16, v98
	v_mul_f16_sdwa v112, v113, v191 dst_sel:DWORD dst_unused:UNUSED_PAD src0_sel:DWORD src1_sel:WORD_1
	v_fmac_f16_e32 v119, v113, v191
	v_mul_f16_sdwa v124, v108, v123 dst_sel:DWORD dst_unused:UNUSED_PAD src0_sel:DWORD src1_sel:WORD_1
	v_fmac_f16_e32 v121, v108, v123
	s_waitcnt vmcnt(0)
	v_mul_f16_sdwa v108, v122, v189 dst_sel:DWORD dst_unused:UNUSED_PAD src0_sel:DWORD src1_sel:WORD_1
	v_fma_f16 v96, v96, v191, -v112
	v_mul_f16_sdwa v112, v98, v189 dst_sel:DWORD dst_unused:UNUSED_PAD src0_sel:DWORD src1_sel:WORD_1
	v_fma_f16 v99, v99, v123, -v124
	s_waitcnt lgkmcnt(1)
	v_lshrrev_b32_e32 v113, 16, v93
	v_mul_f16_sdwa v123, v93, v118 dst_sel:DWORD dst_unused:UNUSED_PAD src0_sel:DWORD src1_sel:WORD_1
	v_fma_f16 v98, v98, v189, -v108
	v_lshrrev_b32_e32 v108, 16, v94
	v_fmac_f16_e32 v112, v122, v189
	s_waitcnt lgkmcnt(0)
	v_lshrrev_b32_e32 v122, 16, v117
	v_fmac_f16_e32 v123, v113, v118
	v_mul_f16_sdwa v113, v113, v118 dst_sel:DWORD dst_unused:UNUSED_PAD src0_sel:DWORD src1_sel:WORD_1
	v_mul_f16_sdwa v124, v108, v120 dst_sel:DWORD dst_unused:UNUSED_PAD src0_sel:DWORD src1_sel:WORD_1
	;; [unrolled: 1-line block ×5, first 2 shown]
	v_fma_f16 v93, v93, v118, -v113
	v_fma_f16 v94, v94, v120, -v124
	v_fmac_f16_e32 v125, v108, v120
	v_fma_f16 v108, v117, v110, -v126
	v_fmac_f16_e32 v127, v122, v110
	v_pack_b32_f16 v107, v107, v114
	v_pack_b32_f16 v105, v105, v109
	v_pack_b32_f16 v95, v95, v111
	v_pack_b32_f16 v96, v96, v119
	v_pack_b32_f16 v99, v99, v121
	v_pack_b32_f16 v98, v98, v112
	v_pack_b32_f16 v93, v93, v123
	v_pack_b32_f16 v94, v94, v125
	v_pack_b32_f16 v108, v108, v127
	ds_write2_b32 v129, v105, v107 offset0:238 offset1:255
	ds_write2_b32 v115, v95, v96 offset0:50 offset1:67
	ds_write2_b32 v115, v98, v99 offset0:152 offset1:169
	ds_write2_b32 v115, v93, v94 offset0:220 offset1:237
	ds_write_b32 v129, v108 offset:2312
	s_waitcnt lgkmcnt(0)
	s_barrier
	buffer_gl0_inv
	ds_read2_b32 v[93:94], v129 offset0:170 offset1:187
	ds_read2_b32 v[95:96], v115 offset0:186 offset1:203
	;; [unrolled: 1-line block ×12, first 2 shown]
	s_waitcnt lgkmcnt(10)
	v_pk_add_f16 v125, v94, v95
	v_pk_add_f16 v126, v94, v95 neg_lo:[0,1] neg_hi:[0,1]
	ds_read2_b32 v[94:95], v129 offset1:17
	s_waitcnt lgkmcnt(10)
	v_pk_add_f16 v127, v98, v96
	v_pk_add_f16 v96, v98, v96 neg_lo:[0,1] neg_hi:[0,1]
	s_waitcnt lgkmcnt(9)
	v_pk_add_f16 v128, v99, v107
	v_pk_add_f16 v140, v99, v107 neg_lo:[0,1] neg_hi:[0,1]
	s_waitcnt lgkmcnt(7)
	v_pk_add_f16 v98, v93, v112
	s_waitcnt lgkmcnt(5)
	v_pk_add_f16 v99, v114, v105
	v_pk_add_f16 v184, v109, v108
	v_pk_add_f16 v186, v109, v108 neg_lo:[0,1] neg_hi:[0,1]
	s_waitcnt lgkmcnt(4)
	v_pk_add_f16 v107, v110, v117
	v_pk_add_f16 v93, v93, v112 neg_lo:[0,1] neg_hi:[0,1]
	v_pk_add_f16 v109, v98, v99
	v_pk_add_f16 v105, v114, v105 neg_lo:[0,1] neg_hi:[0,1]
	v_pk_add_f16 v108, v117, v110 neg_lo:[0,1] neg_hi:[0,1]
	;; [unrolled: 1-line block ×4, first 2 shown]
	v_pk_add_f16 v109, v107, v109
	v_pk_add_f16 v112, v107, v98 neg_lo:[0,1] neg_hi:[0,1]
	v_pk_add_f16 v107, v93, v105 neg_lo:[0,1] neg_hi:[0,1]
	v_pk_add_f16 v98, v108, v93
	v_pk_add_f16 v114, v105, v108 neg_lo:[0,1] neg_hi:[0,1]
	v_pk_mul_f16 v187, 0x3a52, v99 op_sel_hi:[0,1]
	s_waitcnt lgkmcnt(0)
	v_pk_add_f16 v188, v94, v109
	v_pk_mul_f16 v94, 0x39e0, v110 op_sel_hi:[0,1]
	v_pk_mul_f16 v99, 0xbb00, v107 op_sel_hi:[0,1]
	v_pk_add_f16 v189, v108, v93 neg_lo:[0,1] neg_hi:[0,1]
	v_pk_add_f16 v105, v98, v105
	v_pk_fma_f16 v190, 0x3cab, v109, v188 op_sel_hi:[0,1,1] neg_lo:[0,1,0] neg_hi:[0,1,0]
	v_pk_add_f16 v93, v187, v94 op_sel:[1,1] op_sel_hi:[0,0] neg_lo:[1,1] neg_hi:[1,1]
	v_pk_fma_f16 v98, 0xb574, v114, v99 op_sel_hi:[0,1,1] neg_lo:[0,1,1] neg_hi:[0,1,1]
	v_pk_fma_f16 v94, 0x2b26, v112, v94 op_sel_hi:[0,1,1] neg_lo:[0,1,0] neg_hi:[0,1,0]
	v_pk_fma_f16 v99, 0x3846, v189, v99 op_sel_hi:[0,1,1] neg_lo:[0,1,0] neg_hi:[0,1,0]
	v_pk_mul_f16 v114, 0xb574, v114 op_sel_hi:[0,1]
	v_pk_add_f16 v93, v93, v190 op_sel:[0,1] op_sel_hi:[1,0]
	v_pk_fma_f16 v98, 0xb70e, v105, v98 op_sel_hi:[0,1,1]
	v_pk_add_f16 v94, v94, v190
	v_pk_fma_f16 v99, 0xb70e, v105, v99 op_sel_hi:[0,1,1]
	v_pk_add_f16 v117, v119, v118
	v_pk_add_f16 v118, v118, v119 neg_lo:[0,1] neg_hi:[0,1]
	v_pk_add_f16 v119, v120, v121
	v_pk_add_f16 v120, v121, v120 neg_lo:[0,1] neg_hi:[0,1]
	;; [unrolled: 2-line block ×5, first 2 shown]
	v_pk_add_f16 v192, v94, v99 op_sel:[0,1] op_sel_hi:[1,0] neg_lo:[0,1] neg_hi:[0,1]
	v_pk_add_f16 v193, v94, v99 op_sel:[0,1] op_sel_hi:[1,0]
	ds_read_b32 v194, v129 offset:2312
	ds_read2_b32 v[93:94], v129 offset0:102 offset1:119
	ds_read2_b32 v[98:99], v129 offset0:34 offset1:51
	;; [unrolled: 1-line block ×4, first 2 shown]
	v_pk_fma_f16 v112, 0x2b26, v112, v187 op_sel_hi:[0,1,1]
	v_pk_fma_f16 v114, 0x3846, v189, v114 op_sel_hi:[0,1,1]
	v_alignbit_b32 v195, v191, v124, 16
	v_alignbit_b32 v124, v124, v191, 16
	s_waitcnt lgkmcnt(0)
	v_pk_add_f16 v112, v112, v190
	v_pk_fma_f16 v105, 0xb70e, v105, v114 op_sel_hi:[0,1,1]
	v_bfi_b32 v114, 0xffff, v193, v192
	s_barrier
	buffer_gl0_inv
	v_bfi_b32 v196, 0xffff, v192, v193
	v_pk_add_f16 v187, v112, v105 op_sel:[0,1] op_sel_hi:[1,0]
	v_pk_add_f16 v105, v112, v105 op_sel:[0,1] op_sel_hi:[1,0] neg_lo:[0,1] neg_hi:[0,1]
	ds_write2_b32 v104, v114, v124 offset0:4 offset1:5
	ds_write2_b32 v104, v195, v196 offset0:2 offset1:3
	v_pk_add_f16 v114, v93, v106
	v_bfi_b32 v112, 0xffff, v187, v105
	v_pk_add_f16 v93, v93, v106 neg_lo:[0,1] neg_hi:[0,1]
	v_bfi_b32 v105, 0xffff, v105, v187
	v_pk_add_f16 v106, v125, v114 neg_lo:[0,1] neg_hi:[0,1]
	ds_write2_b32 v104, v188, v112 offset1:1
	v_pk_add_f16 v112, v125, v114
	v_pk_add_f16 v114, v114, v117 neg_lo:[0,1] neg_hi:[0,1]
	v_pk_add_f16 v124, v126, v93 neg_lo:[0,1] neg_hi:[0,1]
	;; [unrolled: 1-line block ×3, first 2 shown]
	v_pk_mul_f16 v106, 0x39e0, v106 op_sel_hi:[0,1]
	v_pk_add_f16 v112, v117, v112
	v_pk_add_f16 v117, v117, v125 neg_lo:[0,1] neg_hi:[0,1]
	v_pk_add_f16 v125, v118, v126
	v_pk_mul_f16 v114, 0x3a52, v114 op_sel_hi:[0,1]
	v_pk_mul_f16 v124, 0xbb00, v124 op_sel_hi:[0,1]
	v_pk_add_f16 v95, v95, v112
	v_pk_add_f16 v118, v118, v126 neg_lo:[0,1] neg_hi:[0,1]
	v_pk_add_f16 v93, v125, v93
	v_pk_add_f16 v125, v114, v106 op_sel:[1,1] op_sel_hi:[0,0] neg_lo:[1,1] neg_hi:[1,1]
	v_pk_fma_f16 v126, 0xb574, v188, v124 op_sel_hi:[0,1,1] neg_lo:[0,1,1] neg_hi:[0,1,1]
	v_pk_fma_f16 v112, 0x3cab, v112, v95 op_sel_hi:[0,1,1] neg_lo:[0,1,0] neg_hi:[0,1,0]
	;; [unrolled: 1-line block ×4, first 2 shown]
	v_pk_fma_f16 v114, 0x2b26, v117, v114 op_sel_hi:[0,1,1]
	v_pk_fma_f16 v126, 0xb70e, v93, v126 op_sel_hi:[0,1,1]
	v_pk_add_f16 v125, v125, v112 op_sel:[0,1] op_sel_hi:[1,0]
	v_pk_add_f16 v106, v106, v112
	v_pk_fma_f16 v124, 0xb70e, v93, v124 op_sel_hi:[0,1,1]
	v_pk_add_f16 v112, v114, v112
	v_pk_add_f16 v114, v120, v96
	;; [unrolled: 1-line block ×3, first 2 shown]
	v_pk_add_f16 v125, v125, v126 neg_lo:[0,1] neg_hi:[0,1]
	v_pk_add_f16 v126, v106, v124 op_sel:[0,1] op_sel_hi:[1,0] neg_lo:[0,1] neg_hi:[0,1]
	v_pk_add_f16 v106, v106, v124 op_sel:[0,1] op_sel_hi:[1,0]
	v_pk_mul_f16 v124, 0xb574, v188 op_sel_hi:[0,1]
	v_alignbit_b32 v187, v125, v189, 16
	v_bfi_b32 v117, 0xffff, v126, v106
	v_pk_fma_f16 v118, 0x3846, v118, v124 op_sel_hi:[0,1,1]
	v_alignbit_b32 v124, v189, v125, 16
	v_pk_add_f16 v125, v94, v107
	v_bfi_b32 v106, 0xffff, v106, v126
	ds_write_b32 v104, v105 offset:24
	ds_write2_b32 v103, v187, v117 offset0:2 offset1:3
	v_pk_add_f16 v94, v94, v107 neg_lo:[0,1] neg_hi:[0,1]
	v_pk_fma_f16 v93, 0xb70e, v93, v118 op_sel_hi:[0,1,1]
	v_pk_add_f16 v104, v127, v125
	ds_write2_b32 v103, v106, v124 offset0:4 offset1:5
	v_pk_add_f16 v106, v127, v125 neg_lo:[0,1] neg_hi:[0,1]
	v_pk_add_f16 v107, v125, v119 neg_lo:[0,1] neg_hi:[0,1]
	;; [unrolled: 1-line block ×3, first 2 shown]
	v_pk_add_f16 v104, v119, v104
	v_pk_add_f16 v105, v112, v93 op_sel:[0,1] op_sel_hi:[1,0]
	v_pk_add_f16 v93, v112, v93 op_sel:[0,1] op_sel_hi:[1,0] neg_lo:[0,1] neg_hi:[0,1]
	v_pk_add_f16 v112, v119, v127 neg_lo:[0,1] neg_hi:[0,1]
	v_pk_add_f16 v118, v94, v120 neg_lo:[0,1] neg_hi:[0,1]
	v_pk_mul_f16 v107, 0x3a52, v107 op_sel_hi:[0,1]
	v_pk_add_f16 v98, v98, v104
	v_pk_mul_f16 v106, 0x39e0, v106 op_sel_hi:[0,1]
	v_pk_mul_f16 v117, 0xbb00, v117 op_sel_hi:[0,1]
	v_pk_add_f16 v96, v120, v96 neg_lo:[0,1] neg_hi:[0,1]
	v_pk_add_f16 v94, v114, v94
	v_pk_fma_f16 v104, 0x3cab, v104, v98 op_sel_hi:[0,1,1] neg_lo:[0,1,0] neg_hi:[0,1,0]
	v_pk_add_f16 v114, v107, v106 op_sel:[1,1] op_sel_hi:[0,0] neg_lo:[1,1] neg_hi:[1,1]
	v_pk_fma_f16 v119, 0xb574, v118, v117 op_sel_hi:[0,1,1] neg_lo:[0,1,1] neg_hi:[0,1,1]
	v_pk_fma_f16 v106, 0x2b26, v112, v106 op_sel_hi:[0,1,1] neg_lo:[0,1,0] neg_hi:[0,1,0]
	;; [unrolled: 1-line block ×3, first 2 shown]
	v_bfi_b32 v120, 0xffff, v105, v93
	v_pk_add_f16 v114, v114, v104 op_sel:[0,1] op_sel_hi:[1,0]
	v_pk_fma_f16 v119, 0xb70e, v94, v119 op_sel_hi:[0,1,1]
	v_pk_add_f16 v106, v106, v104
	v_pk_fma_f16 v117, 0xb70e, v94, v117 op_sel_hi:[0,1,1]
	v_bfi_b32 v93, 0xffff, v93, v105
	ds_write2_b32 v103, v95, v120 offset1:1
	v_pk_add_f16 v95, v114, v119
	v_pk_add_f16 v105, v114, v119 neg_lo:[0,1] neg_hi:[0,1]
	v_pk_add_f16 v114, v106, v117 op_sel:[0,1] op_sel_hi:[1,0] neg_lo:[0,1] neg_hi:[0,1]
	v_pk_add_f16 v106, v106, v117 op_sel:[0,1] op_sel_hi:[1,0]
	ds_write_b32 v103, v93 offset:24
	v_pk_mul_f16 v93, 0xb574, v118 op_sel_hi:[0,1]
	v_pk_add_f16 v103, v109, v108
	v_alignbit_b32 v117, v105, v95, 16
	v_bfi_b32 v118, 0xffff, v114, v106
	v_pk_fma_f16 v107, 0x2b26, v112, v107 op_sel_hi:[0,1,1]
	v_pk_fma_f16 v93, 0x3846, v96, v93 op_sel_hi:[0,1,1]
	v_bfi_b32 v106, 0xffff, v106, v114
	v_alignbit_b32 v95, v95, v105, 16
	v_pk_add_f16 v96, v128, v103
	v_pk_add_f16 v104, v107, v104
	v_pk_fma_f16 v93, 0xb70e, v94, v93 op_sel_hi:[0,1,1]
	ds_write2_b32 v100, v117, v118 offset0:2 offset1:3
	ds_write2_b32 v100, v106, v95 offset0:4 offset1:5
	v_pk_add_f16 v95, v109, v108 neg_lo:[0,1] neg_hi:[0,1]
	v_pk_add_f16 v94, v121, v96
	v_pk_add_f16 v105, v103, v121 neg_lo:[0,1] neg_hi:[0,1]
	v_pk_add_f16 v96, v104, v93 op_sel:[0,1] op_sel_hi:[1,0]
	v_pk_add_f16 v103, v128, v103 neg_lo:[0,1] neg_hi:[0,1]
	v_pk_add_f16 v106, v140, v95 neg_lo:[0,1] neg_hi:[0,1]
	v_pk_add_f16 v93, v104, v93 op_sel:[0,1] op_sel_hi:[1,0] neg_lo:[0,1] neg_hi:[0,1]
	v_pk_add_f16 v99, v99, v94
	v_pk_add_f16 v107, v122, v140
	v_pk_add_f16 v108, v95, v122 neg_lo:[0,1] neg_hi:[0,1]
	v_pk_mul_f16 v105, 0x3a52, v105 op_sel_hi:[0,1]
	v_pk_mul_f16 v103, 0x39e0, v103 op_sel_hi:[0,1]
	;; [unrolled: 1-line block ×3, first 2 shown]
	v_bfi_b32 v109, 0xffff, v96, v93
	v_pk_add_f16 v112, v121, v128 neg_lo:[0,1] neg_hi:[0,1]
	v_pk_add_f16 v114, v122, v140 neg_lo:[0,1] neg_hi:[0,1]
	v_pk_add_f16 v95, v107, v95
	v_pk_fma_f16 v94, 0x3cab, v94, v99 op_sel_hi:[0,1,1] neg_lo:[0,1,0] neg_hi:[0,1,0]
	v_pk_add_f16 v104, v105, v103 op_sel:[1,1] op_sel_hi:[0,0] neg_lo:[1,1] neg_hi:[1,1]
	v_pk_fma_f16 v107, 0xb574, v108, v106 op_sel_hi:[0,1,1] neg_lo:[0,1,1] neg_hi:[0,1,1]
	ds_write2_b32 v100, v98, v109 offset1:1
	v_pk_fma_f16 v98, 0x2b26, v112, v103 op_sel_hi:[0,1,1] neg_lo:[0,1,0] neg_hi:[0,1,0]
	v_pk_fma_f16 v103, 0x3846, v114, v106 op_sel_hi:[0,1,1] neg_lo:[0,1,0] neg_hi:[0,1,0]
	v_pk_mul_f16 v106, 0xb574, v108 op_sel_hi:[0,1]
	v_pk_add_f16 v104, v104, v94 op_sel:[0,1] op_sel_hi:[1,0]
	v_pk_fma_f16 v107, 0xb70e, v95, v107 op_sel_hi:[0,1,1]
	v_pk_add_f16 v98, v98, v94
	v_pk_fma_f16 v103, 0xb70e, v95, v103 op_sel_hi:[0,1,1]
	v_pk_fma_f16 v105, 0x2b26, v112, v105 op_sel_hi:[0,1,1]
	;; [unrolled: 1-line block ×3, first 2 shown]
	v_bfi_b32 v93, 0xffff, v93, v96
	v_pk_add_f16 v96, v104, v107
	v_pk_add_f16 v104, v104, v107 neg_lo:[0,1] neg_hi:[0,1]
	v_pk_add_f16 v108, v98, v103 op_sel:[0,1] op_sel_hi:[1,0] neg_lo:[0,1] neg_hi:[0,1]
	v_pk_add_f16 v98, v98, v103 op_sel:[0,1] op_sel_hi:[1,0]
	v_pk_add_f16 v94, v105, v94
	v_pk_fma_f16 v95, 0xb70e, v95, v106 op_sel_hi:[0,1,1]
	v_alignbit_b32 v105, v104, v96, 16
	v_pk_add_f16 v107, v110, v194
	v_bfi_b32 v106, 0xffff, v108, v98
	v_bfi_b32 v98, 0xffff, v98, v108
	v_pk_add_f16 v108, v94, v95 op_sel:[0,1] op_sel_hi:[1,0]
	v_pk_add_f16 v94, v94, v95 op_sel:[0,1] op_sel_hi:[1,0] neg_lo:[0,1] neg_hi:[0,1]
	v_alignbit_b32 v95, v96, v104, 16
	ds_write_b32 v100, v93 offset:24
	ds_write2_b32 v101, v105, v106 offset0:2 offset1:3
	v_pk_add_f16 v103, v184, v107
	v_pk_add_f16 v104, v111, v186
	v_pk_add_f16 v100, v184, v107 neg_lo:[0,1] neg_hi:[0,1]
	ds_write2_b32 v101, v98, v95 offset0:4 offset1:5
	v_pk_add_f16 v95, v110, v194 neg_lo:[0,1] neg_hi:[0,1]
	v_pk_add_f16 v103, v123, v103
	v_pk_add_f16 v98, v107, v123 neg_lo:[0,1] neg_hi:[0,1]
	v_bfi_b32 v96, 0xffff, v94, v108
	v_bfi_b32 v94, 0xffff, v108, v94
	v_pk_add_f16 v105, v186, v95 neg_lo:[0,1] neg_hi:[0,1]
	v_pk_add_f16 v106, v95, v111 neg_lo:[0,1] neg_hi:[0,1]
	v_pk_add_f16 v95, v104, v95
	v_pk_add_f16 v93, v113, v103
	v_pk_mul_f16 v98, 0x3a52, v98 op_sel_hi:[0,1]
	v_pk_mul_f16 v104, 0xbb00, v105 op_sel_hi:[0,1]
	;; [unrolled: 1-line block ×3, first 2 shown]
	v_pk_add_f16 v107, v123, v184 neg_lo:[0,1] neg_hi:[0,1]
	v_pk_add_f16 v108, v111, v186 neg_lo:[0,1] neg_hi:[0,1]
	v_pk_fma_f16 v103, 0x3cab, v103, v93 op_sel_hi:[0,1,1] neg_lo:[0,1,0] neg_hi:[0,1,0]
	v_pk_fma_f16 v109, 0xb574, v106, v104 op_sel_hi:[0,1,1] neg_lo:[0,1,1] neg_hi:[0,1,1]
	v_pk_mul_f16 v106, 0xb574, v106 op_sel_hi:[0,1]
	v_pk_add_f16 v105, v98, v100 op_sel:[1,1] op_sel_hi:[0,0] neg_lo:[1,1] neg_hi:[1,1]
	v_pk_fma_f16 v100, 0x2b26, v107, v100 op_sel_hi:[0,1,1] neg_lo:[0,1,0] neg_hi:[0,1,0]
	v_pk_fma_f16 v104, 0x3846, v108, v104 op_sel_hi:[0,1,1] neg_lo:[0,1,0] neg_hi:[0,1,0]
	v_pk_fma_f16 v98, 0x2b26, v107, v98 op_sel_hi:[0,1,1]
	v_pk_fma_f16 v106, 0x3846, v108, v106 op_sel_hi:[0,1,1]
	v_pk_add_f16 v105, v105, v103 op_sel:[0,1] op_sel_hi:[1,0]
	v_pk_fma_f16 v109, 0xb70e, v95, v109 op_sel_hi:[0,1,1]
	v_pk_add_f16 v100, v100, v103
	v_pk_fma_f16 v104, 0xb70e, v95, v104 op_sel_hi:[0,1,1]
	v_pk_add_f16 v98, v98, v103
	;; [unrolled: 2-line block ×3, first 2 shown]
	v_pk_add_f16 v103, v105, v109 neg_lo:[0,1] neg_hi:[0,1]
	v_pk_add_f16 v105, v100, v104 op_sel:[0,1] op_sel_hi:[1,0] neg_lo:[0,1] neg_hi:[0,1]
	v_pk_add_f16 v100, v100, v104 op_sel:[0,1] op_sel_hi:[1,0]
	v_pk_add_f16 v127, v98, v95 op_sel:[0,1] op_sel_hi:[1,0]
	v_pk_add_f16 v192, v98, v95 op_sel:[0,1] op_sel_hi:[1,0] neg_lo:[0,1] neg_hi:[0,1]
	ds_write2_b32 v101, v99, v94 offset1:1
	v_alignbit_b32 v94, v103, v107, 16
	v_bfi_b32 v95, 0xffff, v105, v100
	v_bfi_b32 v98, 0xffff, v100, v105
	v_alignbit_b32 v99, v107, v103, 16
	v_bfi_b32 v100, 0xffff, v127, v192
	v_bfi_b32 v103, 0xffff, v192, v127
	ds_write_b32 v101, v96 offset:24
	ds_write2_b32 v102, v94, v95 offset0:2 offset1:3
	ds_write2_b32 v102, v98, v99 offset0:4 offset1:5
	ds_write2_b32 v102, v93, v100 offset1:1
	ds_write_b32 v102, v103 offset:24
	s_waitcnt lgkmcnt(0)
	s_barrier
	buffer_gl0_inv
	ds_read2_b32 v[113:114], v97 offset0:117 offset1:134
	ds_read2_b32 v[111:112], v115 offset0:24 offset1:41
	;; [unrolled: 1-line block ×10, first 2 shown]
	ds_read2_b32 v[93:94], v129 offset1:17
	ds_read2_b32 v[125:126], v129 offset0:35 offset1:52
	ds_read2_b32 v[123:124], v129 offset0:70 offset1:87
	;; [unrolled: 1-line block ×6, first 2 shown]
	v_lshrrev_b32_e32 v86, 16, v127
	s_and_saveexec_b32 s0, vcc_lo
	s_cbranch_execz .LBB0_7
; %bb.6:
	v_add_nc_u32_e32 v79, 0x400, v85
	v_add_nc_u32_e32 v80, 0x600, v85
	;; [unrolled: 1-line block ×3, first 2 shown]
	ds_read_b32 v192, v129 offset:136
	ds_read2_b32 v[77:78], v85 offset0:69 offset1:104
	ds_read2_b32 v[81:82], v85 offset0:139 offset1:174
	ds_read2_b32 v[242:243], v85 offset0:209 offset1:244
	ds_read2_b32 v[89:90], v79 offset0:23 offset1:58
	ds_read2_b32 v[91:92], v79 offset0:93 offset1:128
	ds_read2_b32 v[87:88], v79 offset0:163 offset1:198
	ds_read2_b32 v[83:84], v80 offset0:105 offset1:140
	ds_read2_b32 v[79:80], v127 offset0:47 offset1:82
	s_waitcnt lgkmcnt(8)
	v_lshrrev_b32_e32 v86, 16, v192
	s_waitcnt lgkmcnt(7)
	v_lshrrev_b32_e32 v165, 16, v77
	v_lshrrev_b32_e32 v167, 16, v78
	s_waitcnt lgkmcnt(6)
	v_lshrrev_b32_e32 v170, 16, v81
	;; [unrolled: 3-line block ×8, first 2 shown]
	v_lshrrev_b32_e32 v166, 16, v80
.LBB0_7:
	s_or_b32 exec_lo, exec_lo, s0
	s_waitcnt lgkmcnt(5)
	v_lshrrev_b32_e32 v127, 16, v125
	s_waitcnt lgkmcnt(4)
	v_lshrrev_b32_e32 v128, 16, v123
	v_mul_f16_sdwa v186, v28, v125 dst_sel:DWORD dst_unused:UNUSED_PAD src0_sel:WORD_1 src1_sel:DWORD
	s_waitcnt lgkmcnt(3)
	v_lshrrev_b32_e32 v140, 16, v121
	s_waitcnt lgkmcnt(1)
	v_lshrrev_b32_e32 v188, 16, v117
	v_mul_f16_sdwa v219, v28, v127 dst_sel:DWORD dst_unused:UNUSED_PAD src0_sel:WORD_1 src1_sel:DWORD
	v_mul_f16_sdwa v221, v29, v128 dst_sel:DWORD dst_unused:UNUSED_PAD src0_sel:WORD_1 src1_sel:DWORD
	;; [unrolled: 1-line block ×3, first 2 shown]
	v_fma_f16 v222, v28, v127, -v186
	v_lshrrev_b32_e32 v184, 16, v119
	v_fmac_f16_e32 v219, v28, v125
	v_mul_f16_sdwa v28, v30, v121 dst_sel:DWORD dst_unused:UNUSED_PAD src0_sel:WORD_1 src1_sel:DWORD
	s_waitcnt lgkmcnt(0)
	v_lshrrev_b32_e32 v189, 16, v115
	v_lshrrev_b32_e32 v190, 16, v113
	v_fmac_f16_e32 v221, v29, v123
	v_fma_f16 v223, v29, v128, -v187
	v_mul_f16_sdwa v29, v31, v119 dst_sel:DWORD dst_unused:UNUSED_PAD src0_sel:WORD_1 src1_sel:DWORD
	v_mul_f16_sdwa v194, v24, v188 dst_sel:DWORD dst_unused:UNUSED_PAD src0_sel:WORD_1 src1_sel:DWORD
	v_fma_f16 v187, v30, v140, -v28
	v_mul_f16_sdwa v28, v24, v117 dst_sel:DWORD dst_unused:UNUSED_PAD src0_sel:WORD_1 src1_sel:DWORD
	v_lshrrev_b32_e32 v193, 16, v111
	v_lshrrev_b32_e32 v196, 16, v109
	v_mul_f16_sdwa v127, v31, v184 dst_sel:DWORD dst_unused:UNUSED_PAD src0_sel:WORD_1 src1_sel:DWORD
	v_fma_f16 v128, v31, v184, -v29
	v_fmac_f16_e32 v194, v24, v117
	v_mul_f16_sdwa v123, v25, v189 dst_sel:DWORD dst_unused:UNUSED_PAD src0_sel:WORD_1 src1_sel:DWORD
	v_mul_f16_sdwa v29, v25, v115 dst_sel:DWORD dst_unused:UNUSED_PAD src0_sel:WORD_1 src1_sel:DWORD
	v_fma_f16 v195, v24, v188, -v28
	v_mul_f16_sdwa v117, v26, v190 dst_sel:DWORD dst_unused:UNUSED_PAD src0_sel:WORD_1 src1_sel:DWORD
	v_mul_f16_sdwa v24, v26, v113 dst_sel:DWORD dst_unused:UNUSED_PAD src0_sel:WORD_1 src1_sel:DWORD
	v_lshrrev_b32_e32 v198, 16, v105
	v_fmac_f16_e32 v127, v31, v119
	v_fmac_f16_e32 v123, v25, v115
	v_fma_f16 v125, v25, v189, -v29
	v_mul_f16_sdwa v115, v27, v193 dst_sel:DWORD dst_unused:UNUSED_PAD src0_sel:WORD_1 src1_sel:DWORD
	v_fmac_f16_e32 v117, v26, v113
	v_fma_f16 v119, v26, v190, -v24
	v_mul_f16_sdwa v24, v27, v111 dst_sel:DWORD dst_unused:UNUSED_PAD src0_sel:WORD_1 src1_sel:DWORD
	v_mul_f16_sdwa v113, v20, v196 dst_sel:DWORD dst_unused:UNUSED_PAD src0_sel:WORD_1 src1_sel:DWORD
	;; [unrolled: 1-line block ×3, first 2 shown]
	v_lshrrev_b32_e32 v200, 16, v101
	v_fmac_f16_e32 v115, v27, v111
	v_fma_f16 v111, v27, v193, -v24
	v_fmac_f16_e32 v113, v20, v109
	v_fma_f16 v109, v20, v196, -v25
	v_mul_f16_sdwa v193, v22, v198 dst_sel:DWORD dst_unused:UNUSED_PAD src0_sel:WORD_1 src1_sel:DWORD
	v_mul_f16_sdwa v20, v22, v105 dst_sel:DWORD dst_unused:UNUSED_PAD src0_sel:WORD_1 src1_sel:DWORD
	;; [unrolled: 1-line block ×4, first 2 shown]
	v_lshrrev_b32_e32 v197, 16, v107
	v_fmac_f16_e32 v193, v22, v105
	v_fma_f16 v105, v22, v198, -v20
	v_mul_f16_sdwa v20, v16, v101 dst_sel:DWORD dst_unused:UNUSED_PAD src0_sel:WORD_1 src1_sel:DWORD
	v_lshrrev_b32_e32 v199, 16, v103
	v_lshrrev_b32_e32 v202, 16, v97
	v_fmac_f16_e32 v140, v16, v101
	v_lshrrev_b32_e32 v201, 16, v99
	v_fma_f16 v184, v16, v200, -v20
	v_mul_f16_sdwa v16, v18, v97 dst_sel:DWORD dst_unused:UNUSED_PAD src0_sel:WORD_1 src1_sel:DWORD
	v_lshrrev_b32_e32 v204, 16, v126
	v_fmac_f16_e32 v186, v30, v121
	v_mul_f16_sdwa v121, v21, v197 dst_sel:DWORD dst_unused:UNUSED_PAD src0_sel:WORD_1 src1_sel:DWORD
	v_mul_f16_sdwa v24, v21, v107 dst_sel:DWORD dst_unused:UNUSED_PAD src0_sel:WORD_1 src1_sel:DWORD
	;; [unrolled: 1-line block ×3, first 2 shown]
	v_fma_f16 v198, v18, v202, -v16
	v_mul_f16_sdwa v16, v40, v126 dst_sel:DWORD dst_unused:UNUSED_PAD src0_sel:WORD_1 src1_sel:DWORD
	v_lshrrev_b32_e32 v205, 16, v124
	v_fmac_f16_e32 v121, v21, v107
	v_fma_f16 v107, v21, v197, -v24
	v_mul_f16_sdwa v21, v23, v103 dst_sel:DWORD dst_unused:UNUSED_PAD src0_sel:WORD_1 src1_sel:DWORD
	v_fmac_f16_e32 v196, v23, v103
	v_mul_f16_sdwa v188, v17, v201 dst_sel:DWORD dst_unused:UNUSED_PAD src0_sel:WORD_1 src1_sel:DWORD
	v_mul_f16_sdwa v189, v18, v202 dst_sel:DWORD dst_unused:UNUSED_PAD src0_sel:WORD_1 src1_sel:DWORD
	v_fma_f16 v103, v40, v204, -v16
	v_mul_f16_sdwa v16, v41, v124 dst_sel:DWORD dst_unused:UNUSED_PAD src0_sel:WORD_1 src1_sel:DWORD
	v_lshrrev_b32_e32 v203, 16, v95
	v_lshrrev_b32_e32 v207, 16, v120
	v_fma_f16 v197, v23, v199, -v21
	v_mul_f16_sdwa v21, v17, v99 dst_sel:DWORD dst_unused:UNUSED_PAD src0_sel:WORD_1 src1_sel:DWORD
	v_fmac_f16_e32 v188, v17, v99
	v_fmac_f16_e32 v189, v18, v97
	v_mul_f16_sdwa v97, v41, v205 dst_sel:DWORD dst_unused:UNUSED_PAD src0_sel:WORD_1 src1_sel:DWORD
	v_fma_f16 v99, v41, v205, -v16
	v_mul_f16_sdwa v16, v43, v120 dst_sel:DWORD dst_unused:UNUSED_PAD src0_sel:WORD_1 src1_sel:DWORD
	v_lshrrev_b32_e32 v209, 16, v116
	v_fma_f16 v190, v17, v201, -v21
	v_mul_f16_sdwa v17, v19, v203 dst_sel:DWORD dst_unused:UNUSED_PAD src0_sel:WORD_1 src1_sel:DWORD
	v_mul_f16_sdwa v20, v19, v95 dst_sel:DWORD dst_unused:UNUSED_PAD src0_sel:WORD_1 src1_sel:DWORD
	v_fmac_f16_e32 v97, v41, v124
	v_fma_f16 v41, v43, v207, -v16
	v_mul_f16_sdwa v16, v37, v116 dst_sel:DWORD dst_unused:UNUSED_PAD src0_sel:WORD_1 src1_sel:DWORD
	v_fmac_f16_e32 v17, v19, v95
	v_fma_f16 v199, v19, v203, -v20
	v_add_f16_sdwa v19, v93, v222 dst_sel:DWORD dst_unused:UNUSED_PAD src0_sel:WORD_1 src1_sel:DWORD
	v_lshrrev_b32_e32 v206, 16, v122
	v_fma_f16 v27, v37, v209, -v16
	v_add_f16_e32 v16, v93, v219
	v_lshrrev_b32_e32 v210, 16, v114
	v_add_f16_e32 v19, v19, v223
	v_lshrrev_b32_e32 v211, 16, v112
	v_lshrrev_b32_e32 v212, 16, v110
	v_add_f16_e32 v16, v16, v221
	v_mul_f16_sdwa v20, v38, v114 dst_sel:DWORD dst_unused:UNUSED_PAD src0_sel:WORD_1 src1_sel:DWORD
	v_add_f16_e32 v24, v19, v187
	v_mul_f16_sdwa v21, v39, v112 dst_sel:DWORD dst_unused:UNUSED_PAD src0_sel:WORD_1 src1_sel:DWORD
	v_lshrrev_b32_e32 v208, 16, v118
	v_add_f16_e32 v16, v16, v186
	v_lshrrev_b32_e32 v213, 16, v108
	v_add_f16_e32 v25, v24, v128
	v_mul_f16_sdwa v95, v42, v206 dst_sel:DWORD dst_unused:UNUSED_PAD src0_sel:WORD_1 src1_sel:DWORD
	v_mul_f16_sdwa v18, v42, v122 dst_sel:DWORD dst_unused:UNUSED_PAD src0_sel:WORD_1 src1_sel:DWORD
	v_add_f16_e32 v16, v16, v127
	v_fma_f16 v23, v38, v210, -v20
	v_fma_f16 v20, v39, v211, -v21
	v_mul_f16_sdwa v19, v32, v212 dst_sel:DWORD dst_unused:UNUSED_PAD src0_sel:WORD_1 src1_sel:DWORD
	v_mul_f16_sdwa v21, v32, v110 dst_sel:DWORD dst_unused:UNUSED_PAD src0_sel:WORD_1 src1_sel:DWORD
	v_add_f16_e32 v16, v16, v194
	v_add_f16_e32 v25, v25, v195
	v_fmac_f16_e32 v95, v42, v122
	v_fma_f16 v42, v42, v206, -v18
	v_mul_f16_sdwa v30, v36, v208 dst_sel:DWORD dst_unused:UNUSED_PAD src0_sel:WORD_1 src1_sel:DWORD
	v_mul_f16_sdwa v18, v36, v118 dst_sel:DWORD dst_unused:UNUSED_PAD src0_sel:WORD_1 src1_sel:DWORD
	;; [unrolled: 1-line block ×3, first 2 shown]
	v_fmac_f16_e32 v19, v32, v110
	v_fma_f16 v21, v32, v212, -v21
	v_mul_f16_sdwa v29, v33, v108 dst_sel:DWORD dst_unused:UNUSED_PAD src0_sel:WORD_1 src1_sel:DWORD
	v_add_f16_e32 v16, v16, v123
	v_add_f16_e32 v32, v25, v125
	v_lshrrev_b32_e32 v214, 16, v106
	v_lshrrev_b32_e32 v215, 16, v104
	v_mul_f16_sdwa v26, v37, v209 dst_sel:DWORD dst_unused:UNUSED_PAD src0_sel:WORD_1 src1_sel:DWORD
	v_fmac_f16_e32 v30, v36, v118
	v_fma_f16 v31, v36, v208, -v18
	v_fmac_f16_e32 v24, v33, v108
	v_mul_f16_sdwa v36, v34, v106 dst_sel:DWORD dst_unused:UNUSED_PAD src0_sel:WORD_1 src1_sel:DWORD
	v_fma_f16 v25, v33, v213, -v29
	v_add_f16_e32 v16, v16, v117
	v_add_f16_e32 v33, v32, v119
	v_fmac_f16_e32 v26, v37, v116
	v_fma_f16 v29, v34, v214, -v36
	v_mul_f16_sdwa v32, v35, v215 dst_sel:DWORD dst_unused:UNUSED_PAD src0_sel:WORD_1 src1_sel:DWORD
	v_mul_f16_sdwa v36, v35, v104 dst_sel:DWORD dst_unused:UNUSED_PAD src0_sel:WORD_1 src1_sel:DWORD
	v_add_f16_e32 v16, v16, v115
	v_add_f16_e32 v37, v33, v111
	v_mul_f16_sdwa v101, v40, v204 dst_sel:DWORD dst_unused:UNUSED_PAD src0_sel:WORD_1 src1_sel:DWORD
	v_mul_f16_sdwa v22, v38, v210 dst_sel:DWORD dst_unused:UNUSED_PAD src0_sel:WORD_1 src1_sel:DWORD
	v_fmac_f16_e32 v32, v35, v104
	v_fma_f16 v33, v35, v215, -v36
	v_add_f16_e32 v16, v16, v113
	v_add_f16_e32 v35, v37, v109
	v_fmac_f16_e32 v101, v40, v126
	v_mul_f16_sdwa v40, v43, v207 dst_sel:DWORD dst_unused:UNUSED_PAD src0_sel:WORD_1 src1_sel:DWORD
	v_fmac_f16_e32 v22, v38, v114
	v_add_f16_e32 v16, v16, v121
	v_add_f16_e32 v38, v35, v107
	v_lshrrev_b32_e32 v216, 16, v102
	v_fmac_f16_e32 v40, v43, v120
	v_mul_f16_sdwa v18, v39, v211 dst_sel:DWORD dst_unused:UNUSED_PAD src0_sel:WORD_1 src1_sel:DWORD
	v_mul_f16_sdwa v28, v34, v214 dst_sel:DWORD dst_unused:UNUSED_PAD src0_sel:WORD_1 src1_sel:DWORD
	v_add_f16_e32 v16, v16, v193
	v_add_f16_e32 v43, v38, v105
	v_lshrrev_b32_e32 v217, 16, v100
	v_lshrrev_b32_e32 v218, 16, v98
	;; [unrolled: 1-line block ×3, first 2 shown]
	v_fmac_f16_e32 v18, v39, v112
	v_fmac_f16_e32 v28, v34, v106
	v_mul_f16_sdwa v34, v44, v216 dst_sel:DWORD dst_unused:UNUSED_PAD src0_sel:WORD_1 src1_sel:DWORD
	v_mul_f16_sdwa v37, v44, v102 dst_sel:DWORD dst_unused:UNUSED_PAD src0_sel:WORD_1 src1_sel:DWORD
	v_mul_f16_sdwa v39, v45, v100 dst_sel:DWORD dst_unused:UNUSED_PAD src0_sel:WORD_1 src1_sel:DWORD
	v_add_f16_e32 v16, v16, v196
	v_add_f16_e32 v43, v43, v197
	v_fmac_f16_e32 v34, v44, v102
	v_mul_f16_sdwa v36, v45, v217 dst_sel:DWORD dst_unused:UNUSED_PAD src0_sel:WORD_1 src1_sel:DWORD
	v_fma_f16 v35, v44, v216, -v37
	v_fma_f16 v37, v45, v217, -v39
	v_mul_f16_sdwa v38, v46, v218 dst_sel:DWORD dst_unused:UNUSED_PAD src0_sel:WORD_1 src1_sel:DWORD
	v_mul_f16_sdwa v39, v46, v98 dst_sel:DWORD dst_unused:UNUSED_PAD src0_sel:WORD_1 src1_sel:DWORD
	;; [unrolled: 1-line block ×3, first 2 shown]
	v_add_f16_e32 v16, v16, v140
	v_add_f16_e32 v43, v43, v184
	v_sub_f16_e32 v44, v222, v199
	v_fmac_f16_e32 v36, v45, v100
	v_fmac_f16_e32 v38, v46, v98
	v_fma_f16 v39, v46, v218, -v39
	v_fmac_f16_e32 v114, v47, v96
	v_mul_f16_sdwa v45, v47, v96 dst_sel:DWORD dst_unused:UNUSED_PAD src0_sel:WORD_1 src1_sel:DWORD
	v_add_f16_e32 v16, v16, v188
	v_add_f16_e32 v43, v43, v190
	;; [unrolled: 1-line block ×3, first 2 shown]
	v_mul_f16_e32 v96, 0xb5c8, v44
	v_add_f16_e32 v98, v222, v199
	v_add_f16_e32 v16, v16, v189
	;; [unrolled: 1-line block ×3, first 2 shown]
	v_sub_f16_e32 v100, v219, v17
	v_fmamk_f16 v102, v46, 0x3b76, v96
	v_mul_f16_e32 v104, 0x3b76, v98
	v_fma_f16 v122, v47, v220, -v45
	v_add_f16_e32 v16, v16, v17
	v_add_f16_e32 v17, v43, v199
	;; [unrolled: 1-line block ×3, first 2 shown]
	v_mul_f16_e32 v47, 0xb964, v44
	v_mul_f16_e32 v102, 0x39e9, v98
	;; [unrolled: 1-line block ×14, first 2 shown]
	v_sub_f16_e32 v214, v223, v198
	v_add_f16_e32 v198, v223, v198
	v_fmamk_f16 v45, v100, 0x35c8, v104
	v_fma_f16 v96, v46, 0x3b76, -v96
	v_fmac_f16_e32 v104, 0xb5c8, v100
	v_fmamk_f16 v106, v46, 0x39e9, v47
	v_fmamk_f16 v108, v100, 0x3964, v102
	v_fma_f16 v47, v46, 0x39e9, -v47
	v_fmac_f16_e32 v102, 0xb964, v100
	v_fmamk_f16 v112, v46, 0x3722, v110
	;; [unrolled: 4-line block ×7, first 2 shown]
	v_fmamk_f16 v213, v100, 0x31e1, v98
	v_add_f16_e32 v215, v221, v189
	v_mul_f16_e32 v216, 0xb964, v214
	v_fma_f16 v44, v46, 0xbbdd, -v44
	v_fmac_f16_e32 v98, 0xb1e1, v100
	v_sub_f16_e32 v46, v221, v189
	v_mul_f16_e32 v100, 0x39e9, v198
	v_add_f16_sdwa v45, v93, v45 dst_sel:DWORD dst_unused:UNUSED_PAD src0_sel:WORD_1 src1_sel:DWORD
	v_add_f16_e32 v96, v93, v96
	v_add_f16_sdwa v104, v93, v104 dst_sel:DWORD dst_unused:UNUSED_PAD src0_sel:WORD_1 src1_sel:DWORD
	v_add_f16_e32 v106, v93, v106
	;; [unrolled: 2-line block ×14, first 2 shown]
	v_add_f16_sdwa v213, v93, v213 dst_sel:DWORD dst_unused:UNUSED_PAD src0_sel:WORD_1 src1_sel:DWORD
	v_fmamk_f16 v189, v215, 0x39e9, v216
	v_add_f16_e32 v44, v93, v44
	v_add_f16_sdwa v93, v93, v98 dst_sel:DWORD dst_unused:UNUSED_PAD src0_sel:WORD_1 src1_sel:DWORD
	v_mul_f16_e32 v98, 0xbbf7, v214
	v_fmamk_f16 v217, v46, 0x3964, v100
	v_add_f16_e32 v43, v189, v43
	v_fma_f16 v189, v215, 0x39e9, -v216
	v_fmac_f16_e32 v100, 0xb964, v46
	v_fmamk_f16 v216, v215, 0x2de8, v98
	v_add_f16_e32 v45, v217, v45
	v_mul_f16_e32 v217, 0x2de8, v198
	v_add_f16_e32 v96, v189, v96
	v_add_f16_e32 v100, v100, v104
	;; [unrolled: 1-line block ×3, first 2 shown]
	v_fma_f16 v98, v215, 0x2de8, -v98
	v_fmamk_f16 v189, v46, 0x3bf7, v217
	v_fmac_f16_e32 v217, 0xbbf7, v46
	v_mul_f16_e32 v216, 0xb8d2, v198
	v_mul_f16_e32 v106, 0xba62, v214
	v_add_f16_e32 v47, v98, v47
	v_add_f16_e32 v108, v189, v108
	;; [unrolled: 1-line block ×3, first 2 shown]
	v_fmamk_f16 v102, v46, 0x3a62, v216
	v_fmamk_f16 v218, v215, 0xb8d2, v106
	v_mul_f16_e32 v189, 0xb1e1, v214
	v_fma_f16 v106, v215, 0xb8d2, -v106
	v_fmac_f16_e32 v216, 0xba62, v46
	v_add_f16_e32 v102, v102, v120
	v_mul_f16_e32 v120, 0xbbdd, v198
	v_fmamk_f16 v217, v215, 0xbbdd, v189
	v_add_f16_e32 v106, v106, v110
	v_add_f16_e32 v110, v216, v116
	v_mul_f16_e32 v116, 0x3836, v214
	v_fmamk_f16 v216, v46, 0x31e1, v120
	v_add_f16_e32 v124, v217, v124
	v_fma_f16 v189, v215, 0xbbdd, -v189
	v_fmac_f16_e32 v120, 0xb1e1, v46
	v_fmamk_f16 v217, v215, 0xbacd, v116
	v_add_f16_e32 v199, v216, v199
	v_mul_f16_e32 v216, 0xbacd, v198
	v_add_f16_e32 v118, v189, v118
	v_add_f16_e32 v120, v120, v126
	;; [unrolled: 1-line block ×3, first 2 shown]
	v_mul_f16_e32 v189, 0x3bb2, v214
	v_fmamk_f16 v202, v46, 0xb836, v216
	v_fma_f16 v116, v215, 0xbacd, -v116
	v_fmac_f16_e32 v216, 0x3836, v46
	v_mul_f16_e32 v217, 0xb461, v198
	v_add_f16_e32 v112, v218, v112
	v_fmamk_f16 v218, v215, 0xb461, v189
	v_add_f16_e32 v116, v116, v200
	v_add_f16_e32 v200, v216, v201
	v_fmamk_f16 v201, v46, 0xbbb2, v217
	v_add_f16_e32 v202, v202, v203
	v_add_f16_e32 v203, v218, v205
	v_mul_f16_e32 v205, 0x3b29, v214
	v_fma_f16 v189, v215, 0xb461, -v189
	v_fmac_f16_e32 v217, 0x3bb2, v46
	v_add_f16_e32 v201, v201, v208
	v_mul_f16_e32 v208, 0x3722, v198
	v_fmamk_f16 v216, v215, 0x3722, v205
	v_add_f16_e32 v189, v189, v204
	v_add_f16_e32 v204, v217, v206
	v_mul_f16_e32 v206, 0x35c8, v214
	v_fmamk_f16 v214, v46, 0xbb29, v208
	v_fma_f16 v205, v215, 0x3722, -v205
	v_fmac_f16_e32 v208, 0x3b29, v46
	v_add_f16_e32 v209, v216, v209
	v_fmamk_f16 v216, v215, 0x3b76, v206
	v_mul_f16_e32 v198, 0x3b76, v198
	v_add_f16_e32 v205, v205, v207
	v_add_f16_e32 v207, v208, v210
	v_sub_f16_e32 v210, v187, v190
	v_add_f16_e32 v187, v187, v190
	v_add_f16_e32 v208, v216, v212
	v_fmamk_f16 v212, v46, 0xb5c8, v198
	v_fma_f16 v206, v215, 0x3b76, -v206
	v_add_f16_e32 v190, v186, v188
	v_fmac_f16_e32 v198, 0x35c8, v46
	v_sub_f16_e32 v46, v186, v188
	v_mul_f16_e32 v186, 0x3722, v187
	v_add_f16_e32 v211, v214, v211
	v_mul_f16_e32 v214, 0xbb29, v210
	v_add_f16_e32 v44, v206, v44
	v_add_f16_e32 v93, v198, v93
	v_fmamk_f16 v198, v46, 0x3b29, v186
	v_mul_f16_e32 v206, 0xba62, v210
	v_add_f16_e32 v188, v212, v213
	v_fmamk_f16 v212, v190, 0x3722, v214
	v_fmac_f16_e32 v186, 0xbb29, v46
	v_add_f16_e32 v45, v198, v45
	v_fmamk_f16 v198, v190, 0xb8d2, v206
	v_mul_f16_e32 v213, 0xb8d2, v187
	v_add_f16_e32 v43, v212, v43
	v_fma_f16 v212, v190, 0x3722, -v214
	v_add_f16_e32 v100, v186, v100
	v_mul_f16_e32 v186, 0x31e1, v210
	v_add_f16_e32 v104, v198, v104
	v_fmamk_f16 v198, v46, 0x3a62, v213
	v_fma_f16 v206, v190, 0xb8d2, -v206
	v_mul_f16_e32 v214, 0xbbdd, v187
	v_add_f16_e32 v96, v212, v96
	v_fmamk_f16 v212, v190, 0xbbdd, v186
	v_add_f16_e32 v108, v198, v108
	v_add_f16_e32 v47, v206, v47
	v_fmamk_f16 v198, v46, 0xb1e1, v214
	v_mul_f16_e32 v206, 0x3bb2, v210
	v_fmac_f16_e32 v213, 0xba62, v46
	v_add_f16_e32 v112, v212, v112
	v_fma_f16 v186, v190, 0xbbdd, -v186
	v_mul_f16_e32 v212, 0xb461, v187
	v_add_f16_e32 v102, v198, v102
	v_fmamk_f16 v198, v190, 0xb461, v206
	v_add_f16_e32 v98, v213, v98
	v_add_f16_e32 v106, v186, v106
	v_fmamk_f16 v186, v46, 0xbbb2, v212
	v_mul_f16_e32 v213, 0x3964, v210
	v_add_f16_e32 v124, v198, v124
	v_fma_f16 v198, v190, 0xb461, -v206
	v_fmac_f16_e32 v214, 0x31e1, v46
	v_fmac_f16_e32 v212, 0x3bb2, v46
	v_add_f16_e32 v186, v186, v199
	v_fmamk_f16 v199, v190, 0x39e9, v213
	v_mul_f16_e32 v206, 0x39e9, v187
	v_add_f16_e32 v118, v198, v118
	v_mul_f16_e32 v198, 0xb5c8, v210
	v_add_f16_e32 v110, v214, v110
	v_add_f16_e32 v120, v212, v120
	;; [unrolled: 1-line block ×3, first 2 shown]
	v_fmamk_f16 v199, v46, 0xb964, v206
	v_fma_f16 v212, v190, 0x39e9, -v213
	v_fmac_f16_e32 v206, 0x3964, v46
	v_fmamk_f16 v213, v190, 0x3b76, v198
	v_mul_f16_e32 v214, 0x3b76, v187
	v_add_f16_e32 v199, v199, v202
	v_add_f16_e32 v116, v212, v116
	;; [unrolled: 1-line block ×4, first 2 shown]
	v_fmamk_f16 v203, v46, 0x35c8, v214
	v_mul_f16_e32 v206, 0xbbf7, v210
	v_fma_f16 v198, v190, 0x3b76, -v198
	v_mul_f16_e32 v212, 0x2de8, v187
	v_mul_f16_e32 v210, 0xb836, v210
	v_add_f16_e32 v201, v203, v201
	v_fmamk_f16 v203, v190, 0x2de8, v206
	v_fma_f16 v206, v190, 0x2de8, -v206
	v_add_f16_e32 v189, v198, v189
	v_fmamk_f16 v198, v46, 0x3bf7, v212
	v_fmac_f16_e32 v212, 0xbbf7, v46
	v_add_f16_e32 v203, v203, v209
	v_add_f16_e32 v205, v206, v205
	v_sub_f16_e32 v206, v128, v184
	v_add_f16_e32 v198, v198, v211
	v_fmamk_f16 v209, v190, 0xbacd, v210
	v_mul_f16_e32 v187, 0xbacd, v187
	v_add_f16_e32 v207, v212, v207
	v_add_f16_e32 v211, v127, v140
	v_mul_f16_e32 v212, 0xbbf7, v206
	v_add_f16_e32 v128, v128, v184
	v_fmac_f16_e32 v214, 0xb5c8, v46
	v_add_f16_e32 v208, v209, v208
	v_fmamk_f16 v209, v46, 0x3836, v187
	v_fma_f16 v184, v190, 0xbacd, -v210
	v_fmac_f16_e32 v187, 0xb836, v46
	v_sub_f16_e32 v46, v127, v140
	v_fmamk_f16 v127, v211, 0x2de8, v212
	v_mul_f16_e32 v140, 0x2de8, v128
	v_add_f16_e32 v44, v184, v44
	v_add_f16_e32 v93, v187, v93
	v_mul_f16_e32 v184, 0xb1e1, v206
	v_add_f16_e32 v43, v127, v43
	v_fmamk_f16 v127, v46, 0x3bf7, v140
	v_fma_f16 v187, v211, 0x2de8, -v212
	v_fmac_f16_e32 v140, 0xbbf7, v46
	v_mul_f16_e32 v190, 0xbbdd, v128
	v_add_f16_e32 v188, v209, v188
	v_add_f16_e32 v45, v127, v45
	v_fmamk_f16 v127, v211, 0xbbdd, v184
	v_add_f16_e32 v96, v187, v96
	v_add_f16_e32 v100, v140, v100
	v_fmamk_f16 v140, v46, 0x31e1, v190
	v_mul_f16_e32 v187, 0x3bb2, v206
	v_add_f16_e32 v104, v127, v104
	v_fma_f16 v127, v211, 0xbbdd, -v184
	v_mul_f16_e32 v184, 0xb461, v128
	v_add_f16_e32 v108, v140, v108
	v_fmamk_f16 v140, v211, 0xb461, v187
	v_fmac_f16_e32 v190, 0xb1e1, v46
	v_add_f16_e32 v47, v127, v47
	v_mul_f16_e32 v127, 0x35c8, v206
	v_fma_f16 v187, v211, 0xb461, -v187
	v_add_f16_e32 v112, v140, v112
	v_fmamk_f16 v140, v46, 0xbbb2, v184
	v_fmac_f16_e32 v184, 0x3bb2, v46
	v_mul_f16_e32 v209, 0x3b76, v128
	v_add_f16_e32 v98, v190, v98
	v_fmamk_f16 v190, v211, 0x3b76, v127
	v_add_f16_e32 v102, v140, v102
	v_add_f16_e32 v106, v187, v106
	;; [unrolled: 1-line block ×3, first 2 shown]
	v_fmamk_f16 v140, v46, 0xb5c8, v209
	v_mul_f16_e32 v184, 0xbb29, v206
	v_fma_f16 v127, v211, 0x3b76, -v127
	v_mul_f16_e32 v187, 0x3722, v128
	v_add_f16_e32 v124, v190, v124
	v_add_f16_e32 v140, v140, v186
	v_fmamk_f16 v186, v211, 0x3722, v184
	v_add_f16_e32 v118, v127, v118
	v_fmamk_f16 v127, v46, 0x3b29, v187
	v_mul_f16_e32 v190, 0xb836, v206
	v_fma_f16 v184, v211, 0x3722, -v184
	v_fmac_f16_e32 v187, 0xbb29, v46
	v_fmac_f16_e32 v209, 0x35c8, v46
	v_add_f16_e32 v126, v186, v126
	v_add_f16_e32 v127, v127, v199
	v_fmamk_f16 v186, v211, 0xbacd, v190
	v_mul_f16_e32 v199, 0xbacd, v128
	v_add_f16_e32 v116, v184, v116
	v_add_f16_e32 v184, v187, v200
	v_mul_f16_e32 v187, 0x3a62, v206
	v_add_f16_e32 v204, v214, v204
	v_add_f16_e32 v120, v209, v120
	;; [unrolled: 1-line block ×3, first 2 shown]
	v_fmamk_f16 v200, v46, 0x3836, v199
	v_fma_f16 v190, v211, 0xbacd, -v190
	v_fmac_f16_e32 v199, 0xb836, v46
	v_fmamk_f16 v202, v211, 0xb8d2, v187
	v_mul_f16_e32 v209, 0xb8d2, v128
	v_mul_f16_e32 v128, 0x39e9, v128
	v_fma_f16 v187, v211, 0xb8d2, -v187
	v_add_f16_e32 v189, v190, v189
	v_add_f16_e32 v190, v199, v204
	;; [unrolled: 1-line block ×3, first 2 shown]
	v_fmamk_f16 v203, v46, 0xb964, v128
	v_add_f16_e32 v187, v187, v205
	v_sub_f16_e32 v205, v195, v197
	v_add_f16_e32 v200, v200, v201
	v_fmamk_f16 v201, v46, 0xba62, v209
	v_mul_f16_e32 v202, 0x3964, v206
	v_add_f16_e32 v188, v203, v188
	v_add_f16_e32 v203, v194, v196
	v_add_f16_e32 v195, v195, v197
	v_mul_f16_e32 v197, 0xbbb2, v205
	v_fmac_f16_e32 v128, 0x3964, v46
	v_fmac_f16_e32 v209, 0x3a62, v46
	v_add_f16_e32 v198, v201, v198
	v_fmamk_f16 v201, v211, 0x39e9, v202
	v_fma_f16 v202, v211, 0x39e9, -v202
	v_sub_f16_e32 v46, v194, v196
	v_mul_f16_e32 v194, 0xb461, v195
	v_fmamk_f16 v196, v203, 0xb461, v197
	v_add_f16_e32 v93, v128, v93
	v_mul_f16_e32 v128, 0x3836, v205
	v_add_f16_e32 v44, v202, v44
	v_fmamk_f16 v202, v46, 0x3bb2, v194
	v_add_f16_e32 v43, v196, v43
	v_fma_f16 v196, v203, 0xb461, -v197
	v_fmamk_f16 v197, v203, 0xbacd, v128
	v_fmac_f16_e32 v194, 0xbbb2, v46
	v_add_f16_e32 v45, v202, v45
	v_mul_f16_e32 v202, 0xbacd, v195
	v_fma_f16 v128, v203, 0xbacd, -v128
	v_add_f16_e32 v104, v197, v104
	v_mul_f16_e32 v197, 0x39e9, v195
	v_add_f16_e32 v96, v196, v96
	v_add_f16_e32 v100, v194, v100
	v_mul_f16_e32 v194, 0x3964, v205
	v_fmamk_f16 v196, v46, 0xb836, v202
	v_add_f16_e32 v47, v128, v47
	v_fmamk_f16 v128, v46, 0xb964, v197
	v_fmac_f16_e32 v202, 0x3836, v46
	v_fmamk_f16 v206, v203, 0x39e9, v194
	v_add_f16_e32 v108, v196, v108
	v_mul_f16_e32 v196, 0xbb29, v205
	v_fma_f16 v194, v203, 0x39e9, -v194
	v_fmac_f16_e32 v197, 0x3964, v46
	v_add_f16_e32 v102, v128, v102
	v_mul_f16_e32 v128, 0x3722, v195
	v_add_f16_e32 v98, v202, v98
	v_fmamk_f16 v202, v203, 0x3722, v196
	v_add_f16_e32 v106, v194, v106
	v_add_f16_e32 v110, v197, v110
	v_mul_f16_e32 v194, 0xb1e1, v205
	v_fmamk_f16 v197, v46, 0x3b29, v128
	v_add_f16_e32 v124, v202, v124
	v_fma_f16 v196, v203, 0x3722, -v196
	v_fmac_f16_e32 v128, 0xbb29, v46
	v_fmamk_f16 v202, v203, 0xbbdd, v194
	v_add_f16_e32 v140, v197, v140
	v_mul_f16_e32 v197, 0xbbdd, v195
	v_add_f16_e32 v118, v196, v118
	v_add_f16_e32 v120, v128, v120
	;; [unrolled: 1-line block ×3, first 2 shown]
	v_mul_f16_e32 v128, 0x3bf7, v205
	v_fmamk_f16 v196, v46, 0x31e1, v197
	v_fma_f16 v194, v203, 0xbbdd, -v194
	v_mul_f16_e32 v202, 0x2de8, v195
	v_add_f16_e32 v112, v206, v112
	v_fmac_f16_e32 v197, 0xb1e1, v46
	v_fmamk_f16 v206, v203, 0x2de8, v128
	v_add_f16_e32 v127, v196, v127
	v_add_f16_e32 v116, v194, v116
	v_fmamk_f16 v194, v46, 0xbbf7, v202
	v_mul_f16_e32 v196, 0xb5c8, v205
	v_fma_f16 v128, v203, 0x2de8, -v128
	v_fmac_f16_e32 v202, 0x3bf7, v46
	v_add_f16_e32 v184, v197, v184
	v_add_f16_e32 v194, v194, v200
	v_mul_f16_e32 v197, 0x3b76, v195
	v_fmamk_f16 v200, v203, 0x3b76, v196
	v_add_f16_e32 v128, v128, v189
	v_add_f16_e32 v189, v202, v190
	v_mul_f16_e32 v190, 0xba62, v205
	v_add_f16_e32 v204, v209, v207
	v_add_f16_e32 v201, v201, v208
	v_fmamk_f16 v202, v46, 0x35c8, v197
	v_add_f16_e32 v199, v200, v199
	v_fma_f16 v196, v203, 0x3b76, -v196
	v_fmac_f16_e32 v197, 0xb5c8, v46
	v_fmamk_f16 v200, v203, 0xb8d2, v190
	v_mul_f16_e32 v195, 0xb8d2, v195
	v_add_f16_e32 v198, v202, v198
	v_add_f16_e32 v187, v196, v187
	;; [unrolled: 1-line block ×4, first 2 shown]
	v_sub_f16_e32 v200, v125, v105
	v_add_f16_e32 v105, v125, v105
	v_fmamk_f16 v201, v46, 0x3a62, v195
	v_fma_f16 v190, v203, 0xb8d2, -v190
	v_add_f16_e32 v125, v123, v193
	v_mul_f16_e32 v202, 0xba62, v200
	v_fmac_f16_e32 v195, 0xba62, v46
	v_sub_f16_e32 v46, v123, v193
	v_mul_f16_e32 v123, 0xb8d2, v105
	v_add_f16_e32 v44, v190, v44
	v_fmamk_f16 v193, v125, 0xb8d2, v202
	v_add_f16_e32 v93, v195, v93
	v_mul_f16_e32 v195, 0x3bb2, v200
	v_fmamk_f16 v190, v46, 0x3a62, v123
	v_add_f16_e32 v188, v201, v188
	v_add_f16_e32 v43, v193, v43
	v_fma_f16 v193, v125, 0xb8d2, -v202
	v_fmac_f16_e32 v123, 0xba62, v46
	v_add_f16_e32 v45, v190, v45
	v_fmamk_f16 v190, v125, 0xb461, v195
	v_mul_f16_e32 v201, 0xb461, v105
	v_add_f16_e32 v96, v193, v96
	v_add_f16_e32 v100, v123, v100
	v_mul_f16_e32 v123, 0xb5c8, v200
	v_add_f16_e32 v104, v190, v104
	v_fmamk_f16 v190, v46, 0xbbb2, v201
	v_fma_f16 v193, v125, 0xb461, -v195
	v_mul_f16_e32 v202, 0x3b76, v105
	v_fmamk_f16 v195, v125, 0x3b76, v123
	v_fmac_f16_e32 v201, 0x3bb2, v46
	v_add_f16_e32 v108, v190, v108
	v_add_f16_e32 v47, v193, v47
	v_fmamk_f16 v190, v46, 0x35c8, v202
	v_mul_f16_e32 v193, 0xb836, v200
	v_add_f16_e32 v112, v195, v112
	v_fma_f16 v123, v125, 0x3b76, -v123
	v_mul_f16_e32 v195, 0xbacd, v105
	v_add_f16_e32 v102, v190, v102
	v_fmamk_f16 v190, v125, 0xbacd, v193
	v_add_f16_e32 v98, v201, v98
	v_add_f16_e32 v106, v123, v106
	v_fmamk_f16 v123, v46, 0x3836, v195
	v_mul_f16_e32 v201, 0x3bf7, v200
	v_add_f16_e32 v124, v190, v124
	v_fma_f16 v190, v125, 0xbacd, -v193
	v_fmac_f16_e32 v202, 0xb5c8, v46
	v_fmac_f16_e32 v195, 0xb836, v46
	v_add_f16_e32 v123, v123, v140
	v_fmamk_f16 v140, v125, 0x2de8, v201
	v_mul_f16_e32 v193, 0x2de8, v105
	v_add_f16_e32 v118, v190, v118
	v_mul_f16_e32 v190, 0xb964, v200
	v_add_f16_e32 v186, v206, v186
	v_add_f16_e32 v110, v202, v110
	;; [unrolled: 1-line block ×4, first 2 shown]
	v_fmamk_f16 v140, v46, 0xbbf7, v193
	v_fma_f16 v195, v125, 0x2de8, -v201
	v_fmac_f16_e32 v193, 0x3bf7, v46
	v_fmamk_f16 v201, v125, 0x39e9, v190
	v_mul_f16_e32 v202, 0x39e9, v105
	v_add_f16_e32 v127, v140, v127
	v_add_f16_e32 v116, v195, v116
	;; [unrolled: 1-line block ×4, first 2 shown]
	v_fmamk_f16 v186, v46, 0x3964, v202
	v_mul_f16_e32 v193, 0xb1e1, v200
	v_fma_f16 v190, v125, 0x39e9, -v190
	v_mul_f16_e32 v195, 0xbbdd, v105
	v_mul_f16_e32 v200, 0x3b29, v200
	v_add_f16_e32 v186, v186, v194
	v_fmamk_f16 v194, v125, 0xbbdd, v193
	v_add_f16_e32 v128, v190, v128
	v_fmamk_f16 v190, v46, 0x31e1, v195
	v_fma_f16 v193, v125, 0xbbdd, -v193
	v_fmac_f16_e32 v195, 0xb1e1, v46
	v_add_f16_e32 v194, v194, v199
	v_mul_f16_e32 v105, 0x3722, v105
	v_add_f16_e32 v190, v190, v198
	v_fmamk_f16 v198, v125, 0x3722, v200
	v_add_f16_e32 v187, v193, v187
	v_sub_f16_e32 v193, v119, v107
	v_add_f16_e32 v195, v195, v196
	v_add_f16_e32 v107, v119, v107
	;; [unrolled: 1-line block ×4, first 2 shown]
	v_mul_f16_e32 v199, 0xb836, v193
	v_fmac_f16_e32 v202, 0xb964, v46
	v_fmamk_f16 v197, v46, 0xbb29, v105
	v_fma_f16 v119, v125, 0x3722, -v200
	v_fmac_f16_e32 v105, 0x3b29, v46
	v_sub_f16_e32 v46, v117, v121
	v_fmamk_f16 v117, v198, 0xbacd, v199
	v_mul_f16_e32 v121, 0xbacd, v107
	v_add_f16_e32 v125, v197, v188
	v_add_f16_e32 v44, v119, v44
	;; [unrolled: 1-line block ×4, first 2 shown]
	v_fmamk_f16 v105, v46, 0x3836, v121
	v_mul_f16_e32 v117, 0x3b29, v193
	v_fma_f16 v119, v198, 0xbacd, -v199
	v_fmac_f16_e32 v121, 0xb836, v46
	v_mul_f16_e32 v188, 0x3722, v107
	v_add_f16_e32 v105, v105, v45
	v_fmamk_f16 v45, v198, 0x3722, v117
	v_add_f16_e32 v96, v119, v96
	v_add_f16_e32 v100, v121, v100
	v_fmamk_f16 v119, v46, 0xbb29, v188
	v_mul_f16_e32 v121, 0xbbf7, v193
	v_add_f16_e32 v104, v45, v104
	v_fma_f16 v45, v198, 0x3722, -v117
	v_fmac_f16_e32 v188, 0x3b29, v46
	v_add_f16_e32 v108, v119, v108
	v_fmamk_f16 v117, v198, 0x2de8, v121
	v_mul_f16_e32 v119, 0x2de8, v107
	v_add_f16_e32 v47, v45, v47
	v_mul_f16_e32 v45, 0x3a62, v193
	v_fma_f16 v121, v198, 0x2de8, -v121
	v_add_f16_e32 v112, v117, v112
	v_fmamk_f16 v117, v46, 0x3bf7, v119
	v_mul_f16_e32 v197, 0xb8d2, v107
	v_add_f16_e32 v98, v188, v98
	v_fmac_f16_e32 v119, 0xbbf7, v46
	v_fmamk_f16 v188, v198, 0xb8d2, v45
	v_add_f16_e32 v102, v117, v102
	v_add_f16_e32 v117, v121, v106
	v_fmamk_f16 v106, v46, 0xba62, v197
	v_mul_f16_e32 v121, 0xb5c8, v193
	v_add_f16_e32 v110, v119, v110
	v_add_f16_e32 v119, v188, v124
	v_fma_f16 v45, v198, 0xb8d2, -v45
	v_mul_f16_e32 v124, 0x3b76, v107
	v_add_f16_e32 v123, v106, v123
	v_fmamk_f16 v106, v198, 0x3b76, v121
	v_mul_f16_e32 v188, 0xb1e1, v193
	v_add_f16_e32 v118, v45, v118
	v_fmamk_f16 v45, v46, 0x35c8, v124
	v_fmac_f16_e32 v197, 0x3a62, v46
	v_add_f16_e32 v126, v106, v126
	v_fma_f16 v106, v198, 0x3b76, -v121
	v_fmac_f16_e32 v124, 0xb5c8, v46
	v_add_f16_e32 v121, v45, v127
	v_fmamk_f16 v45, v198, 0xbbdd, v188
	v_mul_f16_e32 v127, 0xbbdd, v107
	v_add_f16_e32 v116, v106, v116
	v_mul_f16_e32 v106, 0x3964, v193
	v_add_f16_e32 v120, v197, v120
	v_add_f16_e32 v124, v124, v140
	;; [unrolled: 1-line block ×3, first 2 shown]
	v_fmamk_f16 v45, v46, 0x31e1, v127
	v_fma_f16 v184, v198, 0xbbdd, -v188
	v_fmamk_f16 v188, v198, 0x39e9, v106
	v_mul_f16_e32 v197, 0x39e9, v107
	v_add_f16_e32 v189, v202, v189
	v_fmac_f16_e32 v127, 0xb1e1, v46
	v_add_f16_e32 v186, v45, v186
	v_add_f16_e32 v128, v184, v128
	;; [unrolled: 1-line block ×3, first 2 shown]
	v_fmamk_f16 v45, v46, 0xb964, v197
	v_mul_f16_e32 v188, 0xbbb2, v193
	v_mul_f16_e32 v107, 0xb461, v107
	v_add_f16_e32 v127, v127, v189
	v_fma_f16 v106, v198, 0x39e9, -v106
	v_fmac_f16_e32 v197, 0x3964, v46
	v_add_f16_e32 v189, v45, v190
	v_fmamk_f16 v45, v198, 0xb461, v188
	v_fmamk_f16 v190, v46, 0x3bb2, v107
	v_sub_f16_e32 v194, v111, v109
	v_add_f16_e32 v187, v106, v187
	v_add_f16_e32 v193, v197, v195
	v_add_f16_e32 v195, v45, v196
	v_add_f16_e32 v125, v190, v125
	v_add_f16_e32 v190, v115, v113
	v_add_f16_e32 v196, v111, v109
	v_mul_f16_e32 v106, 0xb1e1, v194
	v_fmac_f16_e32 v107, 0xbbb2, v46
	v_fma_f16 v45, v198, 0xb461, -v188
	v_sub_f16_e32 v188, v115, v113
	v_mul_f16_e32 v46, 0xbbdd, v196
	v_fmamk_f16 v109, v190, 0xbbdd, v106
	v_add_f16_e32 v198, v107, v93
	v_mul_f16_e32 v107, 0x35c8, v194
	v_add_f16_e32 v197, v45, v44
	v_fmamk_f16 v44, v188, 0x31e1, v46
	v_add_f16_e32 v45, v109, v43
	v_fma_f16 v43, v190, 0xbbdd, -v106
	v_fmamk_f16 v106, v190, 0x3b76, v107
	v_fmac_f16_e32 v46, 0xb1e1, v188
	v_add_f16_e32 v93, v44, v105
	v_mul_f16_e32 v105, 0x3b76, v196
	v_add_f16_e32 v43, v43, v96
	v_add_f16_e32 v96, v106, v104
	v_mul_f16_e32 v106, 0xb836, v194
	v_add_f16_e32 v44, v46, v100
	v_fmamk_f16 v46, v188, 0xb5c8, v105
	v_fma_f16 v104, v190, 0x3b76, -v107
	v_fmac_f16_e32 v105, 0x35c8, v188
	v_mul_f16_e32 v107, 0xbacd, v196
	v_fmamk_f16 v109, v190, 0xbacd, v106
	v_mul_f16_e32 v111, 0x39e9, v196
	v_add_f16_e32 v100, v46, v108
	v_add_f16_e32 v46, v104, v47
	;; [unrolled: 1-line block ×3, first 2 shown]
	v_fmamk_f16 v98, v188, 0x3836, v107
	v_add_f16_e32 v104, v109, v112
	v_mul_f16_e32 v105, 0x3964, v194
	v_fmac_f16_e32 v107, 0xb836, v188
	v_fmamk_f16 v112, v188, 0xb964, v111
	v_fmac_f16_e32 v111, 0x3964, v188
	v_fma_f16 v108, v190, 0xbacd, -v106
	v_add_f16_e32 v106, v98, v102
	v_fmamk_f16 v109, v190, 0x39e9, v105
	v_add_f16_e32 v102, v107, v110
	v_add_f16_e32 v107, v111, v120
	;; [unrolled: 1-line block ×4, first 2 shown]
	v_fma_f16 v105, v190, 0x39e9, -v105
	v_add_f16_e32 v108, v109, v119
	v_add_f16_e32 v109, v112, v123
	v_mul_f16_e32 v110, 0xba62, v194
	v_add_f16_sdwa v112, v94, v103 dst_sel:DWORD dst_unused:UNUSED_PAD src0_sel:WORD_1 src1_sel:DWORD
	v_add_f16_e32 v111, v111, v97
	v_add_f16_e32 v105, v105, v118
	v_mul_f16_e32 v115, 0xb8d2, v196
	v_fmamk_f16 v113, v190, 0xb8d2, v110
	v_fma_f16 v110, v190, 0xb8d2, -v110
	v_add_f16_e32 v118, v112, v99
	v_add_f16_e32 v111, v111, v95
	v_fmamk_f16 v117, v188, 0x3a62, v115
	v_add_f16_e32 v112, v113, v126
	v_add_f16_e32 v110, v110, v116
	;; [unrolled: 1-line block ×4, first 2 shown]
	v_mul_f16_e32 v118, 0x3722, v196
	v_add_f16_e32 v113, v117, v121
	v_fmac_f16_e32 v115, 0xba62, v188
	v_add_f16_e32 v116, v116, v41
	v_add_f16_e32 v119, v119, v30
	v_mul_f16_e32 v117, 0x3b29, v194
	v_fmamk_f16 v120, v188, 0xbb29, v118
	v_add_f16_e32 v111, v115, v124
	v_add_f16_e32 v121, v116, v31
	;; [unrolled: 1-line block ×3, first 2 shown]
	v_fmamk_f16 v115, v190, 0x3722, v117
	v_fma_f16 v123, v190, 0x3722, -v117
	v_add_f16_e32 v117, v120, v186
	v_add_f16_e32 v120, v121, v27
	v_mul_f16_e32 v121, 0xbbb2, v194
	v_add_f16_e32 v119, v119, v22
	v_add_f16_e32 v116, v115, v140
	;; [unrolled: 1-line block ×3, first 2 shown]
	v_fmac_f16_e32 v118, 0x3b29, v188
	v_add_f16_e32 v120, v120, v23
	v_mul_f16_e32 v123, 0xb461, v196
	v_fmamk_f16 v124, v190, 0xb461, v121
	v_add_f16_e32 v126, v119, v18
	v_add_f16_e32 v118, v118, v127
	;; [unrolled: 1-line block ×3, first 2 shown]
	v_fmamk_f16 v127, v188, 0x3bb2, v123
	v_add_f16_e32 v119, v124, v184
	v_fma_f16 v124, v190, 0xb461, -v121
	v_add_f16_e32 v126, v126, v19
	v_add_f16_e32 v128, v120, v21
	;; [unrolled: 1-line block ×3, first 2 shown]
	v_mul_f16_e32 v127, 0x3bf7, v194
	v_add_f16_e32 v120, v124, v187
	v_add_f16_e32 v124, v126, v24
	;; [unrolled: 1-line block ×3, first 2 shown]
	v_mul_f16_e32 v140, 0x2de8, v196
	v_fmamk_f16 v128, v190, 0x2de8, v127
	v_fma_f16 v127, v190, 0x2de8, -v127
	v_add_f16_e32 v184, v124, v28
	v_add_f16_e32 v126, v126, v29
	v_fmac_f16_e32 v123, 0xbbb2, v188
	v_add_f16_e32 v124, v128, v195
	v_fmamk_f16 v128, v188, 0xbbf7, v140
	v_add_f16_e32 v184, v184, v32
	v_add_f16_e32 v126, v126, v33
	v_fmac_f16_e32 v140, 0x3bf7, v188
	v_add_f16_e32 v123, v123, v193
	v_add_f16_e32 v125, v128, v125
	;; [unrolled: 1-line block ×5, first 2 shown]
	v_sub_f16_e32 v127, v103, v122
	v_add_f16_e32 v193, v140, v198
	v_add_f16_e32 v128, v128, v36
	;; [unrolled: 1-line block ×5, first 2 shown]
	v_mul_f16_e32 v187, 0xb5c8, v127
	v_add_f16_e32 v103, v128, v38
	v_add_f16_e32 v128, v140, v39
	v_sub_f16_e32 v140, v101, v114
	v_mul_f16_e32 v188, 0x3b76, v186
	v_fmamk_f16 v189, v184, 0x3b76, v187
	v_add_f16_e32 v101, v103, v114
	v_mul_f16_e32 v114, 0xb964, v127
	v_mul_f16_e32 v190, 0x39e9, v186
	;; [unrolled: 1-line block ×14, first 2 shown]
	v_sub_f16_e32 v216, v99, v39
	v_add_f16_e32 v39, v99, v39
	v_add_f16_e32 v103, v128, v122
	v_fmamk_f16 v122, v140, 0x35c8, v188
	v_add_f16_e32 v128, v94, v189
	v_fma_f16 v187, v184, 0x3b76, -v187
	v_fmac_f16_e32 v188, 0xb5c8, v140
	v_fmamk_f16 v189, v184, 0x39e9, v114
	v_fmamk_f16 v195, v140, 0x3964, v190
	v_fma_f16 v114, v184, 0x39e9, -v114
	v_fmac_f16_e32 v190, 0xb964, v140
	v_fmamk_f16 v197, v184, 0x3722, v194
	v_fmamk_f16 v198, v140, 0x3b29, v196
	;; [unrolled: 4-line block ×7, first 2 shown]
	v_fma_f16 v127, v184, 0xbbdd, -v127
	v_add_f16_e32 v99, v97, v38
	v_mul_f16_e32 v184, 0xb964, v216
	v_fmac_f16_e32 v186, 0xb1e1, v140
	v_sub_f16_e32 v38, v97, v38
	v_mul_f16_e32 v97, 0x39e9, v39
	v_add_f16_sdwa v122, v94, v122 dst_sel:DWORD dst_unused:UNUSED_PAD src0_sel:WORD_1 src1_sel:DWORD
	v_add_f16_e32 v187, v94, v187
	v_add_f16_sdwa v188, v94, v188 dst_sel:DWORD dst_unused:UNUSED_PAD src0_sel:WORD_1 src1_sel:DWORD
	v_add_f16_e32 v189, v94, v189
	;; [unrolled: 2-line block ×14, first 2 shown]
	v_add_f16_sdwa v140, v94, v217 dst_sel:DWORD dst_unused:UNUSED_PAD src0_sel:WORD_1 src1_sel:DWORD
	v_fmamk_f16 v217, v99, 0x39e9, v184
	v_add_f16_e32 v127, v94, v127
	v_add_f16_sdwa v94, v94, v186 dst_sel:DWORD dst_unused:UNUSED_PAD src0_sel:WORD_1 src1_sel:DWORD
	v_fmamk_f16 v186, v38, 0x3964, v97
	v_mul_f16_e32 v218, 0xbbf7, v216
	v_fma_f16 v184, v99, 0x39e9, -v184
	v_add_f16_e32 v128, v217, v128
	v_fmac_f16_e32 v97, 0xb964, v38
	v_add_f16_e32 v122, v186, v122
	v_fmamk_f16 v186, v99, 0x2de8, v218
	v_mul_f16_e32 v217, 0x2de8, v39
	v_add_f16_e32 v184, v184, v187
	v_mul_f16_e32 v187, 0xba62, v216
	v_add_f16_e32 v97, v97, v188
	v_add_f16_e32 v186, v186, v189
	v_fmamk_f16 v188, v38, 0x3bf7, v217
	v_fma_f16 v189, v99, 0x2de8, -v218
	v_fmac_f16_e32 v217, 0xbbf7, v38
	v_fmamk_f16 v218, v99, 0xb8d2, v187
	v_mul_f16_e32 v219, 0xb8d2, v39
	v_add_f16_e32 v188, v188, v195
	v_add_f16_e32 v114, v189, v114
	;; [unrolled: 1-line block ×4, first 2 shown]
	v_fmamk_f16 v195, v38, 0x3a62, v219
	v_mul_f16_e32 v197, 0xb1e1, v216
	v_fma_f16 v187, v99, 0xb8d2, -v187
	v_fmac_f16_e32 v219, 0xba62, v38
	v_mul_f16_e32 v217, 0xbbdd, v39
	v_add_f16_e32 v195, v195, v198
	v_fmamk_f16 v198, v99, 0xbbdd, v197
	v_add_f16_e32 v187, v187, v194
	v_add_f16_e32 v194, v219, v196
	v_fmamk_f16 v196, v38, 0x31e1, v217
	v_mul_f16_e32 v218, 0x3836, v216
	v_fma_f16 v197, v99, 0xbbdd, -v197
	v_fmac_f16_e32 v217, 0xb1e1, v38
	v_add_f16_e32 v198, v198, v201
	v_add_f16_e32 v196, v196, v203
	v_fmamk_f16 v201, v99, 0xbacd, v218
	v_mul_f16_e32 v203, 0xbacd, v39
	v_add_f16_e32 v197, v197, v199
	v_add_f16_e32 v199, v217, v200
	v_mul_f16_e32 v200, 0x3bb2, v216
	v_add_f16_e32 v201, v201, v204
	v_fmamk_f16 v204, v38, 0xb836, v203
	v_fma_f16 v217, v99, 0xbacd, -v218
	v_fmac_f16_e32 v203, 0x3836, v38
	v_fmamk_f16 v218, v99, 0xb461, v200
	v_mul_f16_e32 v219, 0xb461, v39
	v_add_f16_e32 v204, v204, v207
	v_add_f16_e32 v202, v217, v202
	;; [unrolled: 1-line block ×4, first 2 shown]
	v_fmamk_f16 v207, v38, 0xbbb2, v219
	v_mul_f16_e32 v209, 0x3b29, v216
	v_fma_f16 v200, v99, 0xb461, -v200
	v_mul_f16_e32 v217, 0x3722, v39
	v_mul_f16_e32 v216, 0x35c8, v216
	v_add_f16_e32 v207, v207, v210
	v_fmamk_f16 v210, v99, 0x3722, v209
	v_fma_f16 v209, v99, 0x3722, -v209
	v_add_f16_e32 v200, v200, v206
	v_fmamk_f16 v206, v38, 0xbb29, v217
	v_fmac_f16_e32 v217, 0x3b29, v38
	v_add_f16_e32 v210, v210, v213
	v_fmamk_f16 v213, v99, 0x3b76, v216
	v_add_f16_e32 v209, v209, v211
	v_sub_f16_e32 v211, v42, v37
	v_mul_f16_e32 v39, 0x3b76, v39
	v_add_f16_e32 v212, v217, v212
	v_add_f16_e32 v213, v213, v215
	;; [unrolled: 1-line block ×3, first 2 shown]
	v_mul_f16_e32 v217, 0xbb29, v211
	v_add_f16_e32 v37, v42, v37
	v_fmac_f16_e32 v219, 0x3bb2, v38
	v_add_f16_e32 v206, v206, v214
	v_fmamk_f16 v214, v38, 0xb5c8, v39
	v_fma_f16 v42, v99, 0x3b76, -v216
	v_fmac_f16_e32 v39, 0x35c8, v38
	v_sub_f16_e32 v36, v95, v36
	v_fmamk_f16 v38, v215, 0x3722, v217
	v_mul_f16_e32 v95, 0x3722, v37
	v_add_f16_e32 v99, v214, v140
	v_add_f16_e32 v42, v42, v127
	;; [unrolled: 1-line block ×4, first 2 shown]
	v_fmamk_f16 v94, v36, 0x3b29, v95
	v_mul_f16_e32 v127, 0xba62, v211
	v_fma_f16 v128, v215, 0x3722, -v217
	v_fmac_f16_e32 v95, 0xbb29, v36
	v_mul_f16_e32 v140, 0xb8d2, v37
	v_add_f16_e32 v94, v94, v122
	v_fmamk_f16 v122, v215, 0xb8d2, v127
	v_add_f16_e32 v128, v128, v184
	v_add_f16_e32 v95, v95, v97
	v_fmamk_f16 v97, v36, 0x3a62, v140
	v_mul_f16_e32 v184, 0x31e1, v211
	v_fma_f16 v127, v215, 0xb8d2, -v127
	v_fmac_f16_e32 v140, 0xba62, v36
	v_add_f16_e32 v122, v122, v186
	v_add_f16_e32 v97, v97, v188
	v_fmamk_f16 v186, v215, 0xbbdd, v184
	v_mul_f16_e32 v188, 0xbbdd, v37
	v_add_f16_e32 v114, v127, v114
	v_add_f16_e32 v127, v140, v189
	v_mul_f16_e32 v140, 0x3bb2, v211
	v_add_f16_e32 v186, v186, v190
	v_fmamk_f16 v189, v36, 0xb1e1, v188
	v_fma_f16 v184, v215, 0xbbdd, -v184
	v_fmac_f16_e32 v188, 0x31e1, v36
	v_fmamk_f16 v190, v215, 0xb461, v140
	v_mul_f16_e32 v214, 0xb461, v37
	v_add_f16_e32 v189, v189, v195
	v_add_f16_e32 v184, v184, v187
	;; [unrolled: 1-line block ×4, first 2 shown]
	v_fmamk_f16 v190, v36, 0xbbb2, v214
	v_mul_f16_e32 v194, 0x3964, v211
	v_fma_f16 v140, v215, 0xb461, -v140
	v_fmac_f16_e32 v214, 0x3bb2, v36
	v_mul_f16_e32 v195, 0x39e9, v37
	v_add_f16_e32 v190, v190, v196
	v_fmamk_f16 v196, v215, 0x39e9, v194
	v_add_f16_e32 v140, v140, v197
	v_add_f16_e32 v197, v214, v199
	v_fmamk_f16 v198, v36, 0xb964, v195
	v_mul_f16_e32 v199, 0xb5c8, v211
	v_fma_f16 v194, v215, 0x39e9, -v194
	v_add_f16_e32 v196, v196, v201
	v_fmac_f16_e32 v195, 0x3964, v36
	v_add_f16_e32 v198, v198, v204
	v_fmamk_f16 v201, v215, 0x3b76, v199
	v_mul_f16_e32 v204, 0x3b76, v37
	v_add_f16_e32 v194, v194, v202
	v_mul_f16_e32 v202, 0xbbf7, v211
	v_add_f16_e32 v208, v219, v208
	v_add_f16_e32 v195, v195, v203
	;; [unrolled: 1-line block ×3, first 2 shown]
	v_fmamk_f16 v203, v36, 0x35c8, v204
	v_fma_f16 v199, v215, 0x3b76, -v199
	v_fmac_f16_e32 v204, 0xb5c8, v36
	v_fmamk_f16 v205, v215, 0x2de8, v202
	v_mul_f16_e32 v214, 0x2de8, v37
	v_mul_f16_e32 v37, 0xbacd, v37
	v_add_f16_e32 v203, v203, v207
	v_add_f16_e32 v199, v199, v200
	;; [unrolled: 1-line block ×4, first 2 shown]
	v_fmamk_f16 v205, v36, 0x3bf7, v214
	v_mul_f16_e32 v207, 0xb836, v211
	v_fmamk_f16 v208, v36, 0x3836, v37
	v_sub_f16_e32 v210, v41, v35
	v_add_f16_e32 v35, v41, v35
	v_fmac_f16_e32 v214, 0xbbf7, v36
	v_add_f16_e32 v205, v205, v206
	v_fmamk_f16 v206, v215, 0xbacd, v207
	v_add_f16_e32 v99, v208, v99
	v_add_f16_e32 v208, v40, v34
	v_mul_f16_e32 v41, 0xbbf7, v210
	v_fma_f16 v207, v215, 0xbacd, -v207
	v_fmac_f16_e32 v37, 0xb836, v36
	v_sub_f16_e32 v34, v40, v34
	v_mul_f16_e32 v36, 0x2de8, v35
	v_fmamk_f16 v40, v208, 0x2de8, v41
	v_add_f16_e32 v42, v207, v42
	v_add_f16_e32 v37, v37, v39
	v_mul_f16_e32 v39, 0xb1e1, v210
	v_fmamk_f16 v207, v34, 0x3bf7, v36
	v_add_f16_e32 v38, v40, v38
	v_fma_f16 v40, v208, 0x2de8, -v41
	v_fmac_f16_e32 v36, 0xbbf7, v34
	v_fmamk_f16 v41, v208, 0xbbdd, v39
	v_add_f16_e32 v94, v207, v94
	v_mul_f16_e32 v207, 0xbbdd, v35
	v_add_f16_e32 v40, v40, v128
	v_add_f16_e32 v36, v36, v95
	;; [unrolled: 1-line block ×3, first 2 shown]
	v_mul_f16_e32 v95, 0x3bb2, v210
	v_fmamk_f16 v122, v34, 0x31e1, v207
	v_mul_f16_e32 v128, 0xb461, v35
	v_fma_f16 v39, v208, 0xbbdd, -v39
	v_fmac_f16_e32 v207, 0xb1e1, v34
	v_fmamk_f16 v211, v208, 0xb461, v95
	v_add_f16_e32 v97, v122, v97
	v_fmamk_f16 v122, v34, 0xbbb2, v128
	v_add_f16_e32 v39, v39, v114
	v_add_f16_e32 v114, v207, v127
	;; [unrolled: 1-line block ×3, first 2 shown]
	v_mul_f16_e32 v186, 0x35c8, v210
	v_fma_f16 v95, v208, 0xb461, -v95
	v_fmac_f16_e32 v128, 0x3bb2, v34
	v_add_f16_e32 v122, v122, v189
	v_mul_f16_e32 v189, 0x3b76, v35
	v_fmamk_f16 v207, v208, 0x3b76, v186
	v_add_f16_e32 v95, v95, v184
	v_add_f16_e32 v128, v128, v187
	v_mul_f16_e32 v184, 0xbb29, v210
	v_fmamk_f16 v187, v34, 0xb5c8, v189
	v_add_f16_e32 v188, v207, v188
	v_fma_f16 v186, v208, 0x3b76, -v186
	v_fmac_f16_e32 v189, 0x35c8, v34
	v_fmamk_f16 v207, v208, 0x3722, v184
	v_add_f16_e32 v187, v187, v190
	v_mul_f16_e32 v190, 0x3722, v35
	v_add_f16_e32 v140, v186, v140
	v_add_f16_e32 v186, v189, v197
	v_add_f16_e32 v189, v207, v196
	v_mul_f16_e32 v196, 0xb836, v210
	v_fmamk_f16 v197, v34, 0x3b29, v190
	v_fma_f16 v184, v208, 0x3722, -v184
	v_mul_f16_e32 v207, 0xbacd, v35
	v_fma_f16 v202, v215, 0x2de8, -v202
	v_fmamk_f16 v211, v208, 0xbacd, v196
	v_add_f16_e32 v197, v197, v198
	v_add_f16_e32 v184, v184, v194
	v_fmamk_f16 v194, v34, 0x3836, v207
	v_mul_f16_e32 v198, 0x3a62, v210
	v_fma_f16 v196, v208, 0xbacd, -v196
	v_fmac_f16_e32 v207, 0xb836, v34
	v_fmac_f16_e32 v190, 0xbb29, v34
	v_add_f16_e32 v194, v194, v203
	v_fmamk_f16 v203, v208, 0xb8d2, v198
	v_add_f16_e32 v196, v196, v199
	v_add_f16_e32 v199, v207, v200
	v_mul_f16_e32 v200, 0x3964, v210
	v_add_f16_e32 v202, v202, v209
	v_add_f16_e32 v206, v206, v213
	;; [unrolled: 1-line block ×4, first 2 shown]
	v_mul_f16_e32 v201, 0xb8d2, v35
	v_add_f16_e32 v203, v203, v204
	v_fma_f16 v198, v208, 0xb8d2, -v198
	v_fmamk_f16 v204, v208, 0x39e9, v200
	v_mul_f16_e32 v35, 0x39e9, v35
	v_fmamk_f16 v207, v34, 0xba62, v201
	v_fma_f16 v200, v208, 0x39e9, -v200
	v_add_f16_e32 v198, v198, v202
	v_add_f16_e32 v202, v204, v206
	v_sub_f16_e32 v204, v31, v33
	v_add_f16_e32 v31, v31, v33
	v_add_f16_e32 v205, v207, v205
	v_fmamk_f16 v206, v34, 0xb964, v35
	v_add_f16_e32 v33, v30, v32
	v_mul_f16_e32 v207, 0xbbb2, v204
	v_fmac_f16_e32 v35, 0x3964, v34
	v_sub_f16_e32 v30, v30, v32
	v_mul_f16_e32 v32, 0xb461, v31
	v_fmac_f16_e32 v201, 0x3a62, v34
	v_add_f16_e32 v34, v206, v99
	v_fmamk_f16 v99, v33, 0xb461, v207
	v_add_f16_e32 v42, v200, v42
	v_add_f16_e32 v35, v35, v37
	v_fmamk_f16 v37, v30, 0x3bb2, v32
	v_mul_f16_e32 v200, 0x3836, v204
	v_fmac_f16_e32 v32, 0xbbb2, v30
	v_add_f16_e32 v38, v99, v38
	v_fma_f16 v99, v33, 0xb461, -v207
	v_add_f16_e32 v37, v37, v94
	v_fmamk_f16 v94, v33, 0xbacd, v200
	v_mul_f16_e32 v206, 0xbacd, v31
	v_add_f16_e32 v32, v32, v36
	v_mul_f16_e32 v36, 0x3964, v204
	v_add_f16_e32 v40, v99, v40
	v_add_f16_e32 v41, v94, v41
	v_fmamk_f16 v94, v30, 0xb836, v206
	v_fma_f16 v99, v33, 0xbacd, -v200
	v_fmac_f16_e32 v206, 0x3836, v30
	v_fmamk_f16 v200, v33, 0x39e9, v36
	v_mul_f16_e32 v207, 0x39e9, v31
	v_add_f16_e32 v94, v94, v97
	v_add_f16_e32 v39, v99, v39
	;; [unrolled: 1-line block ×4, first 2 shown]
	v_fmamk_f16 v114, v30, 0xb964, v207
	v_mul_f16_e32 v127, 0xbb29, v204
	v_fma_f16 v36, v33, 0x39e9, -v36
	v_fmac_f16_e32 v207, 0x3964, v30
	v_mul_f16_e32 v200, 0x3722, v31
	v_add_f16_e32 v114, v114, v122
	v_fmamk_f16 v122, v33, 0x3722, v127
	v_add_f16_e32 v36, v36, v95
	v_add_f16_e32 v95, v207, v128
	v_fmamk_f16 v128, v30, 0x3b29, v200
	v_mul_f16_e32 v206, 0xb1e1, v204
	v_fma_f16 v127, v33, 0x3722, -v127
	v_fmac_f16_e32 v200, 0xbb29, v30
	v_add_f16_e32 v122, v122, v188
	v_add_f16_e32 v128, v128, v187
	v_fmamk_f16 v187, v33, 0xbbdd, v206
	v_mul_f16_e32 v188, 0xbbdd, v31
	v_add_f16_e32 v127, v127, v140
	v_add_f16_e32 v140, v200, v186
	v_mul_f16_e32 v186, 0x3bf7, v204
	v_add_f16_e32 v187, v187, v189
	v_fmamk_f16 v189, v30, 0x31e1, v188
	v_fma_f16 v200, v33, 0xbbdd, -v206
	v_fmac_f16_e32 v188, 0xb1e1, v30
	v_fmamk_f16 v206, v33, 0x2de8, v186
	v_mul_f16_e32 v207, 0x2de8, v31
	v_add_f16_e32 v189, v189, v197
	v_mul_f16_e32 v197, 0xb5c8, v204
	v_add_f16_e32 v188, v188, v190
	v_add_f16_e32 v190, v206, v195
	v_fmamk_f16 v195, v30, 0xbbf7, v207
	v_add_f16_e32 v209, v214, v212
	v_add_f16_e32 v184, v200, v184
	v_fma_f16 v186, v33, 0x2de8, -v186
	v_mul_f16_e32 v200, 0x3b76, v31
	v_add_f16_e32 v194, v195, v194
	v_fmamk_f16 v195, v33, 0x3b76, v197
	v_mul_f16_e32 v204, 0xba62, v204
	v_fma_f16 v197, v33, 0x3b76, -v197
	v_add_f16_e32 v201, v201, v209
	v_add_f16_e32 v186, v186, v196
	v_fmamk_f16 v196, v30, 0x35c8, v200
	v_add_f16_e32 v195, v195, v203
	v_fmac_f16_e32 v200, 0xb5c8, v30
	v_fmamk_f16 v203, v33, 0xb8d2, v204
	v_add_f16_e32 v197, v197, v198
	v_sub_f16_e32 v198, v27, v29
	v_add_f16_e32 v196, v196, v205
	v_mul_f16_e32 v31, 0xb8d2, v31
	v_add_f16_e32 v200, v200, v201
	v_add_f16_e32 v201, v203, v202
	;; [unrolled: 1-line block ×3, first 2 shown]
	v_mul_f16_e32 v205, 0xba62, v198
	v_add_f16_e32 v27, v27, v29
	v_fmac_f16_e32 v207, 0x3bf7, v30
	v_fmamk_f16 v202, v30, 0x3a62, v31
	v_fma_f16 v29, v33, 0xb8d2, -v204
	v_fmac_f16_e32 v31, 0xba62, v30
	v_sub_f16_e32 v26, v26, v28
	v_fmamk_f16 v28, v203, 0xb8d2, v205
	v_mul_f16_e32 v30, 0xb8d2, v27
	v_add_f16_e32 v33, v202, v34
	v_add_f16_e32 v29, v29, v42
	;; [unrolled: 1-line block ×4, first 2 shown]
	v_fmamk_f16 v34, v26, 0x3a62, v30
	v_mul_f16_e32 v35, 0x3bb2, v198
	v_fma_f16 v38, v203, 0xb8d2, -v205
	v_fmac_f16_e32 v30, 0xba62, v26
	v_mul_f16_e32 v42, 0xb461, v27
	v_add_f16_e32 v34, v34, v37
	v_fmamk_f16 v37, v203, 0xb461, v35
	v_add_f16_e32 v38, v38, v40
	v_add_f16_e32 v30, v30, v32
	v_fmamk_f16 v32, v26, 0xbbb2, v42
	v_mul_f16_e32 v40, 0xb5c8, v198
	v_fma_f16 v35, v203, 0xb461, -v35
	v_fmac_f16_e32 v42, 0x3bb2, v26
	v_add_f16_e32 v37, v37, v41
	v_add_f16_e32 v32, v32, v94
	v_fmamk_f16 v41, v203, 0x3b76, v40
	v_mul_f16_e32 v94, 0x3b76, v27
	v_add_f16_e32 v35, v35, v39
	v_add_f16_e32 v39, v42, v97
	v_mul_f16_e32 v42, 0xb836, v198
	v_add_f16_e32 v41, v41, v99
	v_fmamk_f16 v97, v26, 0x35c8, v94
	v_fma_f16 v40, v203, 0x3b76, -v40
	v_fmac_f16_e32 v94, 0xb5c8, v26
	v_fmamk_f16 v99, v203, 0xbacd, v42
	v_mul_f16_e32 v202, 0xbacd, v27
	v_add_f16_e32 v97, v97, v114
	v_add_f16_e32 v36, v40, v36
	;; [unrolled: 1-line block ×4, first 2 shown]
	v_fmamk_f16 v95, v26, 0x3836, v202
	v_mul_f16_e32 v99, 0x3bf7, v198
	v_fma_f16 v42, v203, 0xbacd, -v42
	v_fmac_f16_e32 v202, 0xb836, v26
	v_mul_f16_e32 v114, 0x2de8, v27
	v_add_f16_e32 v95, v95, v128
	v_fmamk_f16 v122, v203, 0x2de8, v99
	v_add_f16_e32 v42, v42, v127
	v_add_f16_e32 v127, v202, v140
	v_fmamk_f16 v128, v26, 0xbbf7, v114
	v_mul_f16_e32 v140, 0xb964, v198
	v_fma_f16 v99, v203, 0x2de8, -v99
	v_add_f16_e32 v122, v122, v187
	v_fmac_f16_e32 v114, 0x3bf7, v26
	v_add_f16_e32 v128, v128, v189
	v_fmamk_f16 v187, v203, 0x39e9, v140
	v_mul_f16_e32 v189, 0x39e9, v27
	v_add_f16_e32 v99, v99, v184
	v_mul_f16_e32 v184, 0xb1e1, v198
	v_add_f16_e32 v199, v207, v199
	v_add_f16_e32 v114, v114, v188
	;; [unrolled: 1-line block ×3, first 2 shown]
	v_fmamk_f16 v188, v26, 0x3964, v189
	v_fma_f16 v140, v203, 0x39e9, -v140
	v_fmac_f16_e32 v189, 0xb964, v26
	v_fmamk_f16 v190, v203, 0xbbdd, v184
	v_mul_f16_e32 v202, 0xbbdd, v27
	v_mul_f16_e32 v27, 0x3722, v27
	v_add_f16_e32 v140, v140, v186
	v_add_f16_e32 v186, v189, v199
	;; [unrolled: 1-line block ×3, first 2 shown]
	v_fmamk_f16 v190, v26, 0x31e1, v202
	v_add_f16_e32 v188, v188, v194
	v_mul_f16_e32 v194, 0x3b29, v198
	v_sub_f16_e32 v198, v23, v25
	v_add_f16_e32 v23, v23, v25
	v_add_f16_e32 v190, v190, v196
	v_fmamk_f16 v196, v26, 0xbb29, v27
	v_fmamk_f16 v195, v203, 0x3722, v194
	v_mul_f16_e32 v25, 0xb836, v198
	v_fma_f16 v194, v203, 0x3722, -v194
	v_fmac_f16_e32 v27, 0x3b29, v26
	v_add_f16_e32 v33, v196, v33
	v_add_f16_e32 v196, v22, v24
	v_sub_f16_e32 v22, v22, v24
	v_mul_f16_e32 v24, 0xbacd, v23
	v_fmac_f16_e32 v202, 0xb1e1, v26
	v_add_f16_e32 v29, v194, v29
	v_fmamk_f16 v26, v196, 0xbacd, v25
	v_add_f16_e32 v27, v27, v31
	v_mul_f16_e32 v31, 0x3b29, v198
	v_fmamk_f16 v194, v22, 0x3836, v24
	v_fma_f16 v25, v196, 0xbacd, -v25
	v_add_f16_e32 v26, v26, v28
	v_fmac_f16_e32 v24, 0xb836, v22
	v_fmamk_f16 v28, v196, 0x3722, v31
	v_add_f16_e32 v34, v194, v34
	v_mul_f16_e32 v194, 0x3722, v23
	v_add_f16_e32 v25, v25, v38
	v_add_f16_e32 v24, v24, v30
	;; [unrolled: 1-line block ×3, first 2 shown]
	v_mul_f16_e32 v30, 0xbbf7, v198
	v_fmamk_f16 v37, v22, 0xbb29, v194
	v_mul_f16_e32 v38, 0x2de8, v23
	v_fma_f16 v31, v196, 0x3722, -v31
	v_fmac_f16_e32 v194, 0x3b29, v22
	v_fmamk_f16 v199, v196, 0x2de8, v30
	v_add_f16_e32 v32, v37, v32
	v_fmamk_f16 v37, v22, 0x3bf7, v38
	v_add_f16_e32 v31, v31, v35
	v_add_f16_e32 v35, v194, v39
	;; [unrolled: 1-line block ×3, first 2 shown]
	v_mul_f16_e32 v41, 0x3a62, v198
	v_fma_f16 v30, v196, 0x2de8, -v30
	v_fmac_f16_e32 v38, 0xbbf7, v22
	v_add_f16_e32 v37, v37, v97
	v_mul_f16_e32 v97, 0xb8d2, v23
	v_fmamk_f16 v194, v196, 0xb8d2, v41
	v_add_f16_e32 v30, v30, v36
	v_add_f16_e32 v36, v38, v40
	v_mul_f16_e32 v38, 0xb5c8, v198
	v_fmamk_f16 v40, v22, 0xba62, v97
	v_add_f16_e32 v94, v194, v94
	v_fma_f16 v41, v196, 0xb8d2, -v41
	v_fmac_f16_e32 v97, 0x3a62, v22
	v_fmamk_f16 v194, v196, 0x3b76, v38
	v_add_f16_e32 v40, v40, v95
	v_mul_f16_e32 v95, 0x3b76, v23
	v_add_f16_e32 v41, v41, v42
	v_add_f16_e32 v42, v97, v127
	;; [unrolled: 1-line block ×3, first 2 shown]
	v_mul_f16_e32 v122, 0xb1e1, v198
	v_fmamk_f16 v127, v22, 0x35c8, v95
	v_fma_f16 v38, v196, 0x3b76, -v38
	v_mul_f16_e32 v194, 0xbbdd, v23
	v_fmac_f16_e32 v95, 0xb5c8, v22
	v_fmamk_f16 v199, v196, 0xbbdd, v122
	v_add_f16_e32 v127, v127, v128
	v_add_f16_e32 v38, v38, v99
	v_fmamk_f16 v99, v22, 0x31e1, v194
	v_mul_f16_e32 v128, 0x3964, v198
	v_fma_f16 v122, v196, 0xbbdd, -v122
	v_fmac_f16_e32 v194, 0xb1e1, v22
	v_fma_f16 v184, v203, 0xbbdd, -v184
	v_add_f16_e32 v95, v95, v114
	v_add_f16_e32 v114, v199, v187
	;; [unrolled: 1-line block ×3, first 2 shown]
	v_mul_f16_e32 v187, 0x39e9, v23
	v_fmamk_f16 v188, v196, 0x39e9, v128
	v_add_f16_e32 v122, v122, v140
	v_add_f16_e32 v140, v194, v186
	v_mul_f16_e32 v186, 0xbbb2, v198
	v_add_f16_e32 v184, v184, v197
	v_add_f16_e32 v197, v202, v200
	;; [unrolled: 1-line block ×3, first 2 shown]
	v_fmamk_f16 v194, v22, 0xb964, v187
	v_add_f16_e32 v188, v188, v189
	v_fma_f16 v128, v196, 0x39e9, -v128
	v_fmac_f16_e32 v187, 0x3964, v22
	v_fmamk_f16 v189, v196, 0xb461, v186
	v_mul_f16_e32 v23, 0xb461, v23
	v_add_f16_e32 v190, v194, v190
	v_add_f16_e32 v128, v128, v184
	;; [unrolled: 1-line block ×4, first 2 shown]
	v_sub_f16_e32 v189, v20, v21
	v_add_f16_e32 v20, v20, v21
	v_fmamk_f16 v194, v22, 0x3bb2, v23
	v_fma_f16 v186, v196, 0xb461, -v186
	v_add_f16_e32 v21, v18, v19
	v_mul_f16_e32 v195, 0xb1e1, v189
	v_fmac_f16_e32 v23, 0xbbb2, v22
	v_sub_f16_e32 v18, v18, v19
	v_mul_f16_e32 v19, 0xbbdd, v20
	v_add_f16_e32 v22, v194, v33
	v_fmamk_f16 v33, v21, 0xbbdd, v195
	v_add_f16_e32 v29, v186, v29
	v_add_f16_e32 v23, v23, v27
	v_fmamk_f16 v27, v18, 0x31e1, v19
	v_mul_f16_e32 v186, 0x35c8, v189
	v_fmac_f16_e32 v19, 0xb1e1, v18
	v_add_f16_e32 v26, v33, v26
	v_fma_f16 v33, v21, 0xbbdd, -v195
	v_add_f16_e32 v27, v27, v34
	v_fmamk_f16 v34, v21, 0x3b76, v186
	v_mul_f16_e32 v194, 0x3b76, v20
	v_add_f16_e32 v19, v19, v24
	v_mul_f16_e32 v24, 0xb836, v189
	v_add_f16_e32 v25, v33, v25
	v_add_f16_e32 v28, v34, v28
	v_fmamk_f16 v33, v18, 0xb5c8, v194
	v_fma_f16 v34, v21, 0x3b76, -v186
	v_fmac_f16_e32 v194, 0x35c8, v18
	v_fmamk_f16 v186, v21, 0xbacd, v24
	v_mul_f16_e32 v195, 0xbacd, v20
	v_add_f16_e32 v32, v33, v32
	v_add_f16_e32 v31, v34, v31
	;; [unrolled: 1-line block ×4, first 2 shown]
	v_fmamk_f16 v35, v18, 0x3836, v195
	v_mul_f16_e32 v39, 0x3964, v189
	v_fma_f16 v24, v21, 0xbacd, -v24
	v_fmac_f16_e32 v195, 0xb836, v18
	v_mul_f16_e32 v186, 0x39e9, v20
	v_add_f16_e32 v35, v35, v37
	v_fmamk_f16 v37, v21, 0x39e9, v39
	v_add_f16_e32 v24, v24, v30
	v_add_f16_e32 v30, v195, v36
	v_fmamk_f16 v36, v18, 0xb964, v186
	v_mul_f16_e32 v194, 0xba62, v189
	v_fma_f16 v39, v21, 0x39e9, -v39
	v_fmac_f16_e32 v186, 0x3964, v18
	v_add_f16_e32 v37, v37, v94
	v_add_f16_e32 v36, v36, v40
	v_fmamk_f16 v40, v21, 0xb8d2, v194
	v_mul_f16_e32 v94, 0xb8d2, v20
	v_add_f16_e32 v39, v39, v41
	v_add_f16_e32 v41, v186, v42
	v_mul_f16_e32 v42, 0x3b29, v189
	v_add_f16_e32 v40, v40, v97
	v_fmamk_f16 v97, v18, 0x3a62, v94
	v_fma_f16 v186, v21, 0xb8d2, -v194
	v_fmac_f16_e32 v94, 0xba62, v18
	v_fmamk_f16 v194, v21, 0x3722, v42
	v_mul_f16_e32 v195, 0x3722, v20
	v_add_f16_e32 v97, v97, v127
	v_mul_f16_e32 v127, 0xbbb2, v189
	v_add_f16_e32 v94, v94, v95
	v_add_f16_e32 v95, v194, v114
	v_fmamk_f16 v114, v18, 0xbb29, v195
	v_add_f16_e32 v38, v186, v38
	v_mul_f16_e32 v186, 0xb461, v20
	v_mul_f16_e32 v20, 0x2de8, v20
	v_fma_f16 v42, v21, 0x3722, -v42
	v_add_f16_e32 v99, v114, v99
	v_fmamk_f16 v114, v21, 0xb461, v127
	v_fma_f16 v127, v21, 0xb461, -v127
	v_fmac_f16_e32 v195, 0x3b29, v18
	v_pack_b32_f16 v16, v16, v17
	v_pack_b32_f16 v17, v45, v93
	v_add_f16_e32 v114, v114, v188
	v_mul_f16_e32 v188, 0x3bf7, v189
	v_add_f16_e32 v127, v127, v128
	v_fmamk_f16 v189, v18, 0xbbf7, v20
	v_fmac_f16_e32 v20, 0x3bf7, v18
	v_pack_b32_f16 v45, v108, v109
	v_fmamk_f16 v128, v21, 0x2de8, v188
	v_fma_f16 v21, v21, 0x2de8, -v188
	v_pack_b32_f16 v93, v112, v113
	v_add_f16_e32 v20, v20, v23
	v_pack_b32_f16 v23, v96, v100
	v_add_f16_e32 v42, v42, v122
	v_add_f16_e32 v21, v21, v29
	v_pack_b32_f16 v29, v104, v106
	v_add_f16_e32 v122, v195, v140
	v_fmamk_f16 v140, v18, 0x3bb2, v186
	s_barrier
	buffer_gl0_inv
	ds_write2_b32 v182, v16, v17 offset1:7
	ds_write2_b32 v182, v23, v29 offset0:14 offset1:21
	ds_write2_b32 v182, v45, v93 offset0:28 offset1:35
	v_pack_b32_f16 v16, v116, v117
	v_pack_b32_f16 v17, v119, v121
	v_fmac_f16_e32 v186, 0xbbb2, v18
	v_pack_b32_f16 v23, v124, v125
	v_pack_b32_f16 v29, v126, v193
	;; [unrolled: 1-line block ×6, first 2 shown]
	v_add_f16_e32 v140, v140, v190
	v_pack_b32_f16 v98, v98, v102
	v_pack_b32_f16 v46, v46, v47
	v_add_f16_e32 v128, v128, v187
	v_add_f16_e32 v22, v189, v22
	ds_write2_b32 v182, v16, v17 offset0:42 offset1:49
	ds_write2_b32 v182, v23, v29 offset0:56 offset1:63
	;; [unrolled: 1-line block ×5, first 2 shown]
	v_pack_b32_f16 v16, v43, v44
	v_add_f16_e32 v18, v186, v184
	v_pack_b32_f16 v17, v101, v103
	v_pack_b32_f16 v23, v26, v27
	;; [unrolled: 1-line block ×8, first 2 shown]
	v_add_nc_u32_e32 v227, 0x88, v129
	v_add_nc_u32_e32 v226, 0xcc, v129
	;; [unrolled: 1-line block ×5, first 2 shown]
	ds_write_b32 v182, v16 offset:448
	ds_write2_b32 v183, v17, v23 offset1:7
	ds_write2_b32 v183, v26, v27 offset0:14 offset1:21
	ds_write2_b32 v183, v28, v29 offset0:28 offset1:35
	;; [unrolled: 1-line block ×3, first 2 shown]
	v_pack_b32_f16 v16, v128, v22
	v_pack_b32_f16 v17, v21, v20
	;; [unrolled: 1-line block ×9, first 2 shown]
	ds_write2_b32 v183, v16, v17 offset0:56 offset1:63
	ds_write2_b32 v183, v18, v20 offset0:70 offset1:77
	;; [unrolled: 1-line block ×4, first 2 shown]
	ds_write_b32 v183, v19 offset:448
	s_and_saveexec_b32 s0, vcc_lo
	s_cbranch_execz .LBB0_9
; %bb.8:
	v_mul_f16_sdwa v31, v8, v165 dst_sel:DWORD dst_unused:UNUSED_PAD src0_sel:WORD_1 src1_sel:DWORD
	v_mul_f16_sdwa v16, v8, v77 dst_sel:DWORD dst_unused:UNUSED_PAD src0_sel:WORD_1 src1_sel:DWORD
	;; [unrolled: 1-line block ×5, first 2 shown]
	v_fmac_f16_e32 v31, v8, v77
	v_fma_f16 v42, v8, v165, -v16
	v_mul_f16_sdwa v8, v15, v80 dst_sel:DWORD dst_unused:UNUSED_PAD src0_sel:WORD_1 src1_sel:DWORD
	v_fmac_f16_e32 v32, v9, v78
	v_fma_f16 v43, v9, v167, -v17
	v_mul_f16_sdwa v9, v13, v84 dst_sel:DWORD dst_unused:UNUSED_PAD src0_sel:WORD_1 src1_sel:DWORD
	v_mul_f16_sdwa v35, v10, v170 dst_sel:DWORD dst_unused:UNUSED_PAD src0_sel:WORD_1 src1_sel:DWORD
	v_fma_f16 v22, v15, v166, -v8
	v_mul_f16_sdwa v8, v14, v79 dst_sel:DWORD dst_unused:UNUSED_PAD src0_sel:WORD_1 src1_sel:DWORD
	v_mul_f16_sdwa v18, v10, v81 dst_sel:DWORD dst_unused:UNUSED_PAD src0_sel:WORD_1 src1_sel:DWORD
	v_mul_f16_sdwa v25, v14, v168 dst_sel:DWORD dst_unused:UNUSED_PAD src0_sel:WORD_1 src1_sel:DWORD
	v_fmac_f16_e32 v23, v15, v80
	v_add_f16_e32 v94, v22, v42
	v_fma_f16 v24, v14, v168, -v8
	v_fma_f16 v26, v13, v171, -v9
	v_mul_f16_sdwa v9, v7, v88 dst_sel:DWORD dst_unused:UNUSED_PAD src0_sel:WORD_1 src1_sel:DWORD
	v_mul_f16_sdwa v34, v7, v176 dst_sel:DWORD dst_unused:UNUSED_PAD src0_sel:WORD_1 src1_sel:DWORD
	;; [unrolled: 1-line block ×3, first 2 shown]
	v_fmac_f16_e32 v35, v10, v81
	v_fma_f16 v41, v10, v170, -v18
	v_fmac_f16_e32 v25, v14, v79
	v_mul_f16_sdwa v10, v12, v83 dst_sel:DWORD dst_unused:UNUSED_PAD src0_sel:WORD_1 src1_sel:DWORD
	v_sub_f16_e32 v8, v31, v23
	v_mul_f16_e32 v33, 0xbbdd, v94
	v_add_f16_e32 v101, v24, v43
	v_mul_f16_sdwa v39, v6, v177 dst_sel:DWORD dst_unused:UNUSED_PAD src0_sel:WORD_1 src1_sel:DWORD
	v_fma_f16 v37, v7, v176, -v9
	v_fmac_f16_e32 v34, v7, v88
	v_mul_f16_sdwa v7, v6, v87 dst_sel:DWORD dst_unused:UNUSED_PAD src0_sel:WORD_1 src1_sel:DWORD
	v_fmac_f16_e32 v36, v11, v82
	v_mul_f16_sdwa v19, v11, v82 dst_sel:DWORD dst_unused:UNUSED_PAD src0_sel:WORD_1 src1_sel:DWORD
	v_mul_f16_sdwa v27, v13, v171 dst_sel:DWORD dst_unused:UNUSED_PAD src0_sel:WORD_1 src1_sel:DWORD
	v_fma_f16 v29, v12, v174, -v10
	v_fmamk_f16 v10, v8, 0x31e1, v33
	v_fmac_f16_e32 v39, v6, v87
	v_mul_f16_sdwa v44, v5, v179 dst_sel:DWORD dst_unused:UNUSED_PAD src0_sel:WORD_1 src1_sel:DWORD
	v_mul_f16_sdwa v93, v4, v181 dst_sel:DWORD dst_unused:UNUSED_PAD src0_sel:WORD_1 src1_sel:DWORD
	v_mul_f16_e32 v81, 0x3b76, v101
	v_fma_f16 v82, v6, v177, -v7
	v_mul_f16_sdwa v7, v5, v92 dst_sel:DWORD dst_unused:UNUSED_PAD src0_sel:WORD_1 src1_sel:DWORD
	v_mul_f16_sdwa v9, v4, v91 dst_sel:DWORD dst_unused:UNUSED_PAD src0_sel:WORD_1 src1_sel:DWORD
	v_sub_f16_e32 v6, v32, v25
	v_fma_f16 v40, v11, v172, -v19
	v_mul_f16_sdwa v28, v12, v174 dst_sel:DWORD dst_unused:UNUSED_PAD src0_sel:WORD_1 src1_sel:DWORD
	v_fmac_f16_e32 v27, v13, v84
	v_fmac_f16_e32 v44, v5, v92
	;; [unrolled: 1-line block ×3, first 2 shown]
	v_fma_f16 v88, v5, v179, -v7
	v_add_f16_e32 v230, v26, v41
	v_add_f16_e32 v5, v86, v10
	v_fma_f16 v91, v4, v181, -v9
	v_fmamk_f16 v4, v6, 0xb5c8, v81
	v_mul_f16_sdwa v7, v0, v242 dst_sel:DWORD dst_unused:UNUSED_PAD src0_sel:WORD_1 src1_sel:DWORD
	v_mul_f16_sdwa v113, v0, v173 dst_sel:DWORD dst_unused:UNUSED_PAD src0_sel:WORD_1 src1_sel:DWORD
	v_fmac_f16_e32 v28, v12, v83
	v_mul_f16_e32 v83, 0xbacd, v230
	v_mul_f16_sdwa v112, v1, v175 dst_sel:DWORD dst_unused:UNUSED_PAD src0_sel:WORD_1 src1_sel:DWORD
	v_add_f16_e32 v4, v4, v5
	v_fma_f16 v118, v0, v173, -v7
	v_fmac_f16_e32 v113, v0, v242
	v_mul_f16_sdwa v5, v1, v243 dst_sel:DWORD dst_unused:UNUSED_PAD src0_sel:WORD_1 src1_sel:DWORD
	v_sub_f16_e32 v0, v35, v27
	v_add_f16_e32 v181, v29, v40
	v_fmac_f16_e32 v112, v1, v243
	v_mul_f16_sdwa v111, v2, v178 dst_sel:DWORD dst_unused:UNUSED_PAD src0_sel:WORD_1 src1_sel:DWORD
	v_fma_f16 v116, v1, v175, -v5
	v_mul_f16_sdwa v5, v2, v89 dst_sel:DWORD dst_unused:UNUSED_PAD src0_sel:WORD_1 src1_sel:DWORD
	v_fmamk_f16 v7, v0, 0x3836, v83
	v_mul_f16_e32 v87, 0x39e9, v181
	v_sub_f16_e32 v1, v36, v28
	v_add_f16_e32 v195, v37, v118
	v_sub_f16_e32 v126, v42, v22
	v_mul_f16_sdwa v107, v3, v180 dst_sel:DWORD dst_unused:UNUSED_PAD src0_sel:WORD_1 src1_sel:DWORD
	v_fmac_f16_e32 v111, v2, v89
	v_mul_f16_sdwa v9, v3, v90 dst_sel:DWORD dst_unused:UNUSED_PAD src0_sel:WORD_1 src1_sel:DWORD
	v_fma_f16 v119, v2, v178, -v5
	v_add_f16_e32 v4, v7, v4
	v_fmamk_f16 v5, v1, 0xb964, v87
	buffer_store_dword v85, off, s[20:23], 0 ; 4-byte Folded Spill
	v_mul_f16_e32 v85, 0xb8d2, v195
	v_sub_f16_e32 v2, v113, v34
	v_add_f16_e32 v199, v82, v116
	v_add_f16_e32 v11, v23, v31
	v_mul_f16_e32 v46, 0xb1e1, v126
	v_sub_f16_e32 v178, v43, v24
	v_fmac_f16_e32 v107, v3, v90
	v_fma_f16 v117, v3, v180, -v9
	v_add_f16_e32 v4, v5, v4
	v_fmamk_f16 v5, v2, 0x3a62, v85
	v_mul_f16_e32 v90, 0x3722, v199
	v_sub_f16_e32 v3, v112, v39
	v_fmamk_f16 v7, v11, 0xbbdd, v46
	v_add_f16_e32 v10, v25, v32
	v_mul_f16_e32 v79, 0x35c8, v178
	v_sub_f16_e32 v175, v41, v26
	v_add_f16_e32 v4, v5, v4
	v_fmamk_f16 v5, v3, 0xbb29, v90
	v_add_f16_e32 v7, v192, v7
	v_fmamk_f16 v12, v10, 0x3b76, v79
	v_add_f16_e32 v9, v27, v35
	v_mul_f16_e32 v77, 0xb836, v175
	v_sub_f16_e32 v179, v40, v29
	v_add_f16_e32 v210, v88, v119
	v_add_f16_e32 v13, v5, v4
	;; [unrolled: 1-line block ×3, first 2 shown]
	v_fmamk_f16 v12, v9, 0xbacd, v77
	v_add_f16_e32 v5, v28, v36
	v_mul_f16_e32 v14, 0x3964, v179
	v_mul_f16_e32 v89, 0xb461, v210
	v_sub_f16_e32 v170, v118, v37
	v_sub_f16_e32 v4, v111, v44
	v_add_f16_e32 v12, v12, v7
	buffer_store_dword v14, off, s[20:23], 0 offset:36 ; 4-byte Folded Spill
	v_fmamk_f16 v14, v5, 0x39e9, v14
	v_add_f16_e32 v7, v34, v113
	v_mul_f16_e32 v16, 0xba62, v170
	v_fmamk_f16 v15, v4, 0x3bb2, v89
	v_sub_f16_e32 v200, v116, v82
	v_add_f16_e32 v12, v14, v12
	v_mul_f16_e32 v92, 0xbacd, v94
	v_fmamk_f16 v14, v7, 0xb8d2, v16
	v_add_f16_e32 v15, v15, v13
	v_add_f16_e32 v13, v39, v112
	v_mul_f16_e32 v80, 0x3b29, v200
	buffer_store_dword v16, off, s[20:23], 0 offset:40 ; 4-byte Folded Spill
	v_add_f16_e32 v12, v14, v12
	v_mul_f16_e32 v95, 0x3722, v101
	v_add_f16_e32 v197, v91, v117
	v_fmamk_f16 v14, v13, 0x3722, v80
	v_sub_f16_e32 v207, v119, v88
	v_mul_f16_e32 v102, 0x2de8, v230
	v_mul_f16_e32 v96, 0xb8d2, v181
	;; [unrolled: 1-line block ×3, first 2 shown]
	v_add_f16_e32 v16, v14, v12
	v_fmamk_f16 v12, v8, 0x3836, v92
	v_fmamk_f16 v14, v6, 0xbb29, v95
	v_mul_f16_e32 v78, 0xbbb2, v207
	v_mul_f16_e32 v105, 0x3b76, v195
	;; [unrolled: 1-line block ×3, first 2 shown]
	v_add_f16_e32 v12, v86, v12
	v_mul_f16_e32 v120, 0xb836, v126
	v_mul_f16_e32 v121, 0x3b29, v178
	v_sub_f16_e32 v231, v117, v91
	v_mul_f16_e32 v110, 0x39e9, v210
	v_add_f16_e32 v17, v14, v12
	v_sub_f16_e32 v14, v107, v93
	v_fmamk_f16 v19, v10, 0x3722, v121
	v_mul_f16_e32 v106, 0x3bf7, v231
	v_mul_f16_e32 v122, 0xbbf7, v175
	v_mul_f16_e32 v47, 0xb5c8, v170
	v_fmamk_f16 v12, v14, 0xbbf7, v114
	v_mul_f16_e32 v108, 0xb8d2, v94
	v_mul_f16_e32 v97, 0xb461, v101
	;; [unrolled: 1-line block ×4, first 2 shown]
	v_add_f16_e32 v12, v12, v15
	v_add_f16_e32 v15, v44, v111
	v_fmamk_f16 v21, v6, 0xbbb2, v97
	v_mul_f16_e32 v174, 0xb461, v197
	v_mul_f16_e32 v183, 0x3964, v207
	buffer_store_dword v12, off, s[20:23], 0 offset:4 ; 4-byte Folded Spill
	v_fmamk_f16 v18, v15, 0xb461, v78
	v_mul_f16_e32 v99, 0xbacd, v181
	v_mul_f16_e32 v103, 0x2de8, v195
	;; [unrolled: 1-line block ×4, first 2 shown]
	v_add_f16_e32 v16, v18, v16
	v_fmamk_f16 v18, v0, 0x3bf7, v102
	v_mul_f16_e32 v124, 0x3bb2, v178
	v_mul_f16_e32 v202, 0xbbb2, v231
	;; [unrolled: 1-line block ×4, first 2 shown]
	v_add_f16_e32 v17, v18, v17
	v_fmamk_f16 v18, v1, 0xba62, v96
	v_fmamk_f16 v30, v10, 0xb461, v124
	v_mul_f16_e32 v173, 0x3bf7, v170
	v_mul_f16_e32 v203, 0xb461, v94
	;; [unrolled: 1-line block ×3, first 2 shown]
	v_add_f16_e32 v17, v18, v17
	v_fmamk_f16 v18, v2, 0x35c8, v105
	v_mul_f16_e32 v193, 0xb964, v200
	v_mul_f16_e32 v206, 0x39e9, v230
	v_fmamk_f16 v38, v6, 0xb836, v204
	v_mul_f16_e32 v172, 0x3722, v197
	v_add_f16_e32 v17, v18, v17
	v_fmamk_f16 v18, v3, 0x31e1, v104
	v_mul_f16_e32 v198, 0xb1e1, v207
	v_mul_f16_e32 v211, 0x3722, v181
	;; [unrolled: 1-line block ×4, first 2 shown]
	v_add_f16_e32 v18, v18, v17
	v_fmamk_f16 v17, v11, 0xbacd, v120
	v_mul_f16_e32 v182, 0xbbb2, v126
	v_mul_f16_e32 v194, 0x3836, v178
	;; [unrolled: 1-line block ×4, first 2 shown]
	v_add_f16_e32 v17, v192, v17
	v_mul_f16_e32 v125, 0x3964, v175
	v_fmamk_f16 v45, v10, 0xbacd, v194
	v_mul_f16_e32 v171, 0xbb29, v179
	v_mul_f16_e32 v208, 0x2de8, v94
	v_add_f16_e32 v19, v19, v17
	v_add_f16_e32 v17, v93, v107
	v_mul_f16_e32 v209, 0xbbdd, v101
	v_mul_f16_e32 v180, 0x3bf7, v200
	;; [unrolled: 1-line block ×4, first 2 shown]
	v_fmamk_f16 v20, v17, 0x2de8, v106
	v_fmamk_f16 v84, v6, 0x31e1, v209
	v_mul_f16_e32 v196, 0xb5c8, v207
	v_mul_f16_e32 v219, 0x3b76, v181
	;; [unrolled: 1-line block ×3, first 2 shown]
	v_add_f16_e32 v12, v20, v16
	v_fmamk_f16 v20, v4, 0xb964, v110
	v_mul_f16_e32 v16, 0x3a62, v179
	v_mul_f16_e32 v222, 0xbacd, v199
	v_mul_f16_e32 v233, 0xbbf7, v126
	buffer_store_dword v12, off, s[20:23], 0 offset:8 ; 4-byte Folded Spill
	v_add_f16_e32 v18, v20, v18
	v_fmamk_f16 v20, v9, 0x2de8, v122
	v_mul_f16_e32 v234, 0xb1e1, v178
	v_mul_f16_e32 v228, 0xb8d2, v210
	;; [unrolled: 1-line block ×4, first 2 shown]
	v_add_f16_e32 v19, v20, v19
	v_fmamk_f16 v20, v5, 0xb8d2, v16
	v_fmamk_f16 v115, v10, 0xbbdd, v234
	v_mul_f16_e32 v243, 0xbb29, v170
	v_mul_f16_e32 v212, 0xb8d2, v101
	;; [unrolled: 1-line block ×3, first 2 shown]
	v_add_f16_e32 v19, v20, v19
	v_fmamk_f16 v20, v7, 0x3b76, v47
	v_mul_f16_e32 v213, 0xbbdd, v230
	v_fmamk_f16 v127, v6, 0x3a62, v212
	v_mul_f16_e32 v248, 0x39e9, v197
	v_mul_f16_e32 v252, 0x3a62, v207
	v_add_f16_e32 v19, v20, v19
	v_fmamk_f16 v20, v8, 0x3a62, v108
	v_mul_f16_e32 v214, 0xb461, v181
	v_mul_f16_e32 v221, 0x39e9, v195
	;; [unrolled: 1-line block ×4, first 2 shown]
	v_add_f16_e32 v20, v86, v20
	v_mul_f16_e32 v241, 0xba62, v178
	v_mul_f16_e32 v140, 0x3964, v231
	;; [unrolled: 1-line block ×4, first 2 shown]
	v_add_f16_e32 v20, v21, v20
	v_fmamk_f16 v21, v13, 0xbbdd, v176
	v_fmamk_f16 v128, v10, 0xb8d2, v241
	v_mul_f16_e32 v247, 0x3964, v170
	v_mul_f16_e32 v184, 0x39e9, v94
	;; [unrolled: 1-line block ×3, first 2 shown]
	v_add_f16_e32 v19, v21, v19
	v_fmamk_f16 v21, v0, 0x35c8, v98
	v_mul_f16_e32 v188, 0xb8d2, v230
	v_mul_f16_e32 v217, 0xbacd, v197
	v_fmamk_f16 v187, v6, 0x3bf7, v186
	v_mul_f16_e32 v167, 0xbbf7, v207
	v_add_f16_e32 v20, v21, v20
	v_fmamk_f16 v21, v14, 0x3bb2, v174
	v_mul_f16_e32 v190, 0xbbdd, v181
	v_mov_b32_e32 v166, v254
	v_mul_f16_e32 v254, 0xb461, v199
	v_mul_f16_e32 v251, 0xb964, v126
	v_add_f16_e32 v12, v21, v18
	v_fmamk_f16 v21, v15, 0x39e9, v183
	v_mul_f16_e32 v18, 0xb5c8, v175
	v_mul_f16_e32 v235, 0xbbf7, v178
	;; [unrolled: 1-line block ×3, first 2 shown]
	buffer_store_dword v12, off, s[20:23], 0 offset:12 ; 4-byte Folded Spill
	v_add_f16_e32 v19, v21, v19
	v_fmamk_f16 v21, v1, 0x3836, v99
	v_fmamk_f16 v201, v10, 0x2de8, v235
	v_mul_f16_e32 v229, 0x3722, v210
	v_mul_f16_e32 v238, 0xba62, v175
	;; [unrolled: 1-line block ×3, first 2 shown]
	v_add_f16_e32 v20, v21, v20
	v_fmamk_f16 v21, v2, 0xbbf7, v103
	v_mul_f16_e32 v240, 0x3836, v170
	v_mul_f16_e32 v246, 0x3bb2, v200
	v_add_f16_e32 v31, v192, v31
	v_mov_b32_e32 v165, v162
	v_add_f16_e32 v20, v21, v20
	v_fmamk_f16 v21, v3, 0x3964, v100
	v_mov_b32_e32 v162, v159
	v_mov_b32_e32 v159, v157
	v_mov_b32_e32 v157, v155
	v_mov_b32_e32 v155, v153
	v_add_f16_e32 v20, v21, v20
	v_fmamk_f16 v21, v11, 0xb8d2, v123
	v_mov_b32_e32 v153, v151
	v_mov_b32_e32 v151, v149
	;; [unrolled: 1-line block ×4, first 2 shown]
	v_add_f16_e32 v21, v192, v21
	v_mov_b32_e32 v144, v141
	v_mov_b32_e32 v141, v137
	;; [unrolled: 1-line block ×4, first 2 shown]
	v_add_f16_e32 v21, v30, v21
	v_fmamk_f16 v30, v17, 0xb461, v202
	v_add_f16_e32 v31, v32, v31
	v_add_f16_e32 v32, v42, v86
	v_mul_f16_e32 v42, 0x2de8, v181
	v_mov_b32_e32 v168, v191
	v_add_f16_e32 v12, v30, v19
	v_fmamk_f16 v30, v4, 0x31e1, v109
	v_mul_f16_e32 v19, 0xb1e1, v170
	v_add_f16_e32 v32, v43, v32
	v_mov_b32_e32 v191, v164
	buffer_store_dword v12, off, s[20:23], 0 offset:16 ; 4-byte Folded Spill
	v_add_f16_e32 v20, v30, v20
	v_fmamk_f16 v30, v9, 0x3b76, v18
	v_fmamk_f16 v43, v1, 0x3bf7, v42
	v_add_f16_e32 v31, v35, v31
	v_add_f16_e32 v32, v41, v32
	v_mul_f16_e32 v35, 0xb461, v195
	v_add_f16_e32 v21, v30, v21
	v_fmamk_f16 v30, v5, 0xbacd, v177
	v_add_f16_e32 v36, v36, v31
	v_add_f16_e32 v40, v40, v32
	v_fmamk_f16 v41, v2, 0x3bb2, v35
	v_fmac_f16_e32 v33, 0xb1e1, v8
	v_add_f16_e32 v21, v30, v21
	v_fmamk_f16 v30, v7, 0x2de8, v173
	v_add_f16_e32 v40, v118, v40
	v_fmac_f16_e32 v81, 0x35c8, v6
	v_add_f16_e32 v33, v86, v33
	v_fmac_f16_e32 v83, 0xb836, v0
	v_add_f16_e32 v21, v30, v21
	v_fmamk_f16 v30, v8, 0x3bb2, v203
	v_fmac_f16_e32 v87, 0x3964, v1
	v_add_f16_e32 v81, v81, v33
	v_fmac_f16_e32 v85, 0xba62, v2
	v_fmac_f16_e32 v90, 0x3b29, v3
	v_add_f16_e32 v30, v86, v30
	v_fmac_f16_e32 v89, 0xbbb2, v4
	v_mul_f16_e32 v33, 0xba62, v200
	v_fmac_f16_e32 v186, 0xbbf7, v6
	v_fmac_f16_e32 v95, 0x3b29, v6
	v_add_f16_e32 v30, v38, v30
	v_fmamk_f16 v38, v13, 0x39e9, v193
	v_fmac_f16_e32 v97, 0x3bb2, v6
	v_fmac_f16_e32 v204, 0x3836, v6
	v_fmac_f16_e32 v209, 0xb1e1, v6
	v_fmac_f16_e32 v212, 0xba62, v6
	v_add_f16_e32 v21, v38, v21
	v_fmamk_f16 v38, v0, 0xb964, v206
	v_fmac_f16_e32 v92, 0xb836, v8
	v_fmac_f16_e32 v108, 0xba62, v8
	;; [unrolled: 6-line block ×3, first 2 shown]
	v_fmac_f16_e32 v42, 0xbbf7, v1
	v_fmac_f16_e32 v96, 0x3a62, v1
	v_add_f16_e32 v12, v38, v20
	v_fmamk_f16 v38, v15, 0xbbdd, v198
	v_mov_b32_e32 v20, v227
	v_mul_f16_e32 v227, 0x2de8, v210
	v_fmac_f16_e32 v99, 0xb836, v1
	buffer_store_dword v12, off, s[20:23], 0 offset:20 ; 4-byte Folded Spill
	v_add_f16_e32 v21, v38, v21
	v_fmamk_f16 v38, v1, 0x3b29, v211
	v_fmac_f16_e32 v211, 0xbb29, v1
	v_fmac_f16_e32 v35, 0xbbb2, v2
	;; [unrolled: 1-line block ×4, first 2 shown]
	v_add_f16_e32 v30, v38, v30
	v_fmamk_f16 v38, v2, 0x31e1, v218
	v_fmac_f16_e32 v218, 0xb1e1, v2
	v_mul_f16_e32 v32, 0x35c8, v231
	v_fmac_f16_e32 v104, 0xb1e1, v3
	v_fmac_f16_e32 v100, 0xb964, v3
	v_add_f16_e32 v30, v38, v30
	v_fmamk_f16 v38, v3, 0xbbf7, v215
	v_fmac_f16_e32 v215, 0x3bf7, v3
	v_fmac_f16_e32 v110, 0x3964, v4
	;; [unrolled: 1-line block ×4, first 2 shown]
	v_add_f16_e32 v30, v38, v30
	v_fmamk_f16 v38, v11, 0xb461, v182
	v_fmac_f16_e32 v174, 0xbbb2, v14
	v_fmac_f16_e32 v172, 0x3b29, v14
	v_fmamk_f16 v31, v17, 0x3b76, v32
	v_add_f16_e32 v38, v192, v38
	v_add_f16_e32 v38, v45, v38
	v_fmamk_f16 v45, v17, 0x3722, v225
	v_add_f16_e32 v12, v45, v21
	v_fmamk_f16 v45, v4, 0x35c8, v205
	v_mov_b32_e32 v21, v226
	v_mul_f16_e32 v226, 0x3722, v94
	v_fmac_f16_e32 v205, 0xb5c8, v4
	buffer_store_dword v12, off, s[20:23], 0 offset:24 ; 4-byte Folded Spill
	v_add_f16_e32 v30, v45, v30
	v_fmamk_f16 v45, v9, 0x39e9, v125
	v_add_f16_e32 v38, v45, v38
	v_fmamk_f16 v45, v5, 0x3722, v171
	;; [unrolled: 2-line block ×4, first 2 shown]
	v_fmac_f16_e32 v208, 0xbbf7, v8
	v_add_f16_e32 v45, v86, v45
	v_add_f16_e32 v45, v84, v45
	v_fmamk_f16 v84, v13, 0x2de8, v180
	v_add_f16_e32 v38, v84, v38
	v_fmamk_f16 v84, v0, 0xbbb2, v216
	v_fmac_f16_e32 v216, 0x3bb2, v0
	v_add_f16_e32 v45, v84, v45
	v_fmamk_f16 v84, v14, 0x3a62, v232
	v_fmac_f16_e32 v232, 0xba62, v14
	v_add_f16_e32 v12, v84, v30
	v_fmamk_f16 v84, v15, 0x3b76, v196
	v_mov_b32_e32 v30, v224
	v_mul_f16_e32 v224, 0xba62, v231
	buffer_store_dword v12, off, s[20:23], 0 offset:28 ; 4-byte Folded Spill
	v_add_f16_e32 v38, v84, v38
	v_fmamk_f16 v84, v1, 0xb5c8, v219
	v_fmac_f16_e32 v219, 0x35c8, v1
	v_add_f16_e32 v45, v84, v45
	v_fmamk_f16 v84, v2, 0x3b29, v223
	v_fmac_f16_e32 v223, 0xbb29, v2
	;; [unrolled: 3-line block ×3, first 2 shown]
	v_add_f16_e32 v45, v84, v45
	v_fmamk_f16 v84, v11, 0x2de8, v233
	v_add_f16_e32 v84, v192, v84
	v_add_f16_e32 v84, v115, v84
	v_fmamk_f16 v115, v17, 0xb8d2, v224
	v_add_f16_e32 v12, v115, v38
	v_fmamk_f16 v115, v4, 0xba62, v228
	v_mov_b32_e32 v38, v185
	v_mov_b32_e32 v185, v143
	;; [unrolled: 1-line block ×3, first 2 shown]
	buffer_store_dword v12, off, s[20:23], 0 offset:32 ; 4-byte Folded Spill
	v_add_f16_e32 v45, v115, v45
	v_fmamk_f16 v115, v9, 0xb461, v237
	v_mul_f16_e32 v12, 0xb5c8, v200
	v_mov_b32_e32 v139, v136
	v_mov_b32_e32 v136, v133
	;; [unrolled: 1-line block ×3, first 2 shown]
	v_add_f16_e32 v84, v115, v84
	v_fmamk_f16 v115, v5, 0x3b76, v244
	v_fmac_f16_e32 v228, 0x3a62, v4
	v_add_f16_e32 v84, v115, v84
	v_fmamk_f16 v115, v7, 0x3722, v243
	v_add_f16_e32 v84, v115, v84
	v_fmamk_f16 v115, v8, 0x3b29, v226
	v_fmac_f16_e32 v226, 0xbb29, v8
	v_add_f16_e32 v115, v86, v115
	v_add_f16_e32 v115, v127, v115
	v_fmamk_f16 v127, v13, 0xbacd, v249
	v_add_f16_e32 v84, v127, v84
	v_fmamk_f16 v127, v0, 0xb1e1, v213
	v_fmac_f16_e32 v213, 0x31e1, v0
	v_add_f16_e32 v115, v127, v115
	v_fmamk_f16 v127, v14, 0xb964, v248
	v_fmac_f16_e32 v248, 0x3964, v14
	v_add_f16_e32 v45, v127, v45
	v_fmamk_f16 v127, v15, 0xb8d2, v252
	v_add_f16_e32 v84, v127, v84
	v_fmamk_f16 v127, v1, 0xbbb2, v214
	v_fmac_f16_e32 v214, 0x3bb2, v1
	v_add_f16_e32 v115, v127, v115
	v_fmamk_f16 v127, v2, 0xb964, v221
	v_fmac_f16_e32 v221, 0x3964, v2
	;; [unrolled: 3-line block ×3, first 2 shown]
	v_add_f16_e32 v115, v127, v115
	v_fmamk_f16 v127, v11, 0x3722, v239
	v_add_f16_e32 v127, v192, v127
	v_add_f16_e32 v127, v128, v127
	v_fmamk_f16 v128, v17, 0x39e9, v140
	v_add_f16_e32 v84, v128, v84
	v_fmamk_f16 v128, v4, 0x3bf7, v227
	v_fmac_f16_e32 v227, 0xbbf7, v4
	v_add_f16_e32 v115, v128, v115
	v_fmamk_f16 v128, v9, 0xbbdd, v245
	v_add_f16_e32 v127, v128, v127
	v_fmamk_f16 v128, v5, 0xb461, v250
	;; [unrolled: 2-line block ×4, first 2 shown]
	v_fmac_f16_e32 v184, 0xb964, v8
	v_add_f16_e32 v128, v86, v128
	v_add_f16_e32 v128, v187, v128
	v_fmamk_f16 v187, v13, 0x3b76, v12
	v_add_f16_e32 v127, v187, v127
	v_fmamk_f16 v187, v0, 0x3a62, v188
	v_fmac_f16_e32 v188, 0xba62, v0
	v_add_f16_e32 v128, v187, v128
	v_fmamk_f16 v187, v14, 0x3836, v217
	v_fmac_f16_e32 v217, 0xb836, v14
	v_add_f16_e32 v115, v187, v115
	v_fmamk_f16 v187, v15, 0x2de8, v167
	v_add_f16_e32 v187, v187, v127
	v_fmamk_f16 v127, v1, 0x31e1, v190
	v_fmac_f16_e32 v190, 0xb1e1, v1
	v_add_f16_e32 v128, v127, v128
	v_mul_f16_e32 v127, 0xbacd, v195
	v_fmamk_f16 v189, v2, 0xb836, v127
	v_fmac_f16_e32 v127, 0x3836, v2
	v_add_f16_e32 v128, v189, v128
	v_fmamk_f16 v189, v3, 0xbbb2, v254
	v_fmac_f16_e32 v254, 0x3bb2, v3
	v_add_f16_e32 v128, v189, v128
	v_fmamk_f16 v189, v11, 0x39e9, v251
	v_add_f16_e32 v189, v192, v189
	v_add_f16_e32 v189, v201, v189
	v_fmamk_f16 v201, v17, 0xbacd, v236
	v_add_f16_e32 v201, v201, v187
	v_fmamk_f16 v187, v4, 0xbb29, v229
	v_fmac_f16_e32 v229, 0x3b29, v4
	v_add_f16_e32 v130, v187, v128
	v_fmamk_f16 v128, v9, 0xb8d2, v238
	v_fmamk_f16 v187, v5, 0xbbdd, v242
	v_add_f16_e32 v128, v128, v189
	v_add_f16_e32 v128, v187, v128
	v_fmamk_f16 v187, v7, 0xbacd, v240
	v_add_f16_e32 v189, v187, v128
	v_mul_f16_e32 v128, 0x3b76, v94
	v_mul_f16_e32 v187, 0x39e9, v101
	v_fmamk_f16 v94, v8, 0x35c8, v128
	v_fmamk_f16 v101, v6, 0x3964, v187
	v_fmac_f16_e32 v128, 0xb5c8, v8
	v_fmac_f16_e32 v187, 0xb964, v6
	v_fma_f16 v6, v11, 0x39e9, -v251
	v_add_f16_e32 v94, v86, v94
	v_add_f16_e32 v6, v192, v6
	;; [unrolled: 1-line block ×3, first 2 shown]
	v_fmamk_f16 v101, v13, 0xb461, v246
	v_add_f16_e32 v131, v101, v189
	v_mul_f16_e32 v189, 0x3722, v230
	v_mul_f16_e32 v230, 0x3b29, v207
	v_fmamk_f16 v101, v0, 0x3b29, v189
	v_fmac_f16_e32 v189, 0xbb29, v0
	v_add_f16_e32 v164, v101, v94
	v_mul_f16_e32 v101, 0x3b76, v197
	v_add_f16_e32 v43, v43, v164
	v_fmamk_f16 v94, v14, 0xb5c8, v101
	v_fmac_f16_e32 v101, 0x35c8, v14
	v_mov_b32_e32 v164, v191
	v_mov_b32_e32 v191, v168
	v_add_f16_e32 v41, v41, v43
	v_add_f16_e32 v43, v113, v36
	v_mul_f16_e32 v36, 0xb8d2, v199
	v_add_f16_e32 v94, v94, v130
	v_fmamk_f16 v130, v15, 0x3722, v230
	v_add_f16_e32 v43, v112, v43
	v_fmamk_f16 v113, v3, 0x3a62, v36
	v_add_f16_e32 v112, v116, v40
	v_mul_f16_e32 v40, 0xbacd, v210
	v_fmac_f16_e32 v36, 0xba62, v3
	v_add_f16_e32 v130, v130, v131
	v_add_f16_e32 v41, v113, v41
	v_mov_b32_e32 v131, v134
	v_fmamk_f16 v113, v4, 0x3836, v40
	v_fmac_f16_e32 v40, 0xb836, v4
	v_add_f16_e32 v31, v31, v130
	v_mov_b32_e32 v134, v137
	v_mov_b32_e32 v137, v141
	v_add_f16_e32 v113, v113, v41
	v_add_f16_e32 v41, v111, v43
	;; [unrolled: 1-line block ×3, first 2 shown]
	v_mul_f16_e32 v112, 0xb5c8, v126
	v_mul_f16_e32 v111, 0xb964, v178
	v_mov_b32_e32 v141, v144
	v_add_f16_e32 v41, v107, v41
	v_add_f16_e32 v107, v117, v43
	v_fmamk_f16 v116, v11, 0x3b76, v112
	v_fmamk_f16 v118, v10, 0x39e9, v111
	v_mul_f16_e32 v43, 0xbb29, v175
	v_add_f16_e32 v93, v93, v41
	v_add_f16_e32 v91, v91, v107
	;; [unrolled: 1-line block ×3, first 2 shown]
	v_mul_f16_e32 v41, 0xbbf7, v179
	v_fmamk_f16 v117, v9, 0x3722, v43
	v_add_f16_e32 v93, v44, v93
	v_add_f16_e32 v88, v88, v91
	v_add_f16_e32 v116, v118, v116
	v_fmamk_f16 v107, v5, 0x2de8, v41
	v_mul_f16_e32 v44, 0xbbb2, v170
	v_add_f16_e32 v39, v39, v93
	v_add_f16_e32 v82, v82, v88
	;; [unrolled: 1-line block ×3, first 2 shown]
	v_fmamk_f16 v88, v13, 0xb8d2, v33
	v_fmamk_f16 v91, v7, 0xb461, v44
	v_add_f16_e32 v34, v34, v39
	v_add_f16_e32 v37, v37, v82
	;; [unrolled: 1-line block ×4, first 2 shown]
	v_fma_f16 v82, v11, 0x3722, -v239
	v_add_f16_e32 v34, v28, v34
	v_add_f16_e32 v29, v29, v37
	;; [unrolled: 1-line block ×4, first 2 shown]
	v_mul_f16_e32 v28, 0xb836, v207
	v_add_f16_e32 v27, v27, v34
	v_add_f16_e32 v34, v26, v29
	;; [unrolled: 1-line block ×4, first 2 shown]
	v_fmamk_f16 v39, v15, 0xbacd, v28
	v_add_f16_e32 v81, v25, v27
	v_add_f16_e32 v24, v24, v34
	;; [unrolled: 1-line block ×3, first 2 shown]
	v_mul_f16_e32 v25, 0xb1e1, v231
	v_add_f16_e32 v39, v39, v88
	v_fma_f16 v37, v10, 0x3b76, -v79
	v_add_f16_e32 v22, v22, v24
	v_add_f16_e32 v24, v89, v34
	v_fma_f16 v34, v11, 0xbbdd, -v46
	buffer_load_dword v46, off, s[20:23], 0 offset:36 ; 4-byte Folded Reload
	v_fmamk_f16 v27, v17, 0xbbdd, v25
	v_fma_f16 v79, v10, 0xbacd, -v194
	v_add_f16_e32 v23, v23, v81
	v_add_f16_e32 v34, v192, v34
	v_fma_f16 v81, v10, 0xbbdd, -v234
	v_add_f16_e32 v27, v27, v39
	v_fma_f16 v39, v9, 0xbacd, -v77
	v_fma_f16 v77, v10, 0x3722, -v121
	v_add_f16_e32 v34, v37, v34
	v_add_f16_e32 v82, v192, v82
	v_fma_f16 v83, v10, 0xb8d2, -v241
	v_fma_f16 v85, v5, 0xb461, -v250
	v_add_f16_e32 v37, v86, v92
	v_add_f16_e32 v34, v39, v34
	v_fma_f16 v39, v11, 0xbacd, -v120
	v_add_f16_e32 v82, v83, v82
	v_fma_f16 v83, v9, 0xbbdd, -v245
	v_mul_f16_e32 v29, 0xbbdd, v197
	v_fma_f16 v3, v7, 0xb461, -v44
	v_add_f16_e32 v39, v192, v39
	v_add_f16_e32 v37, v95, v37
	;; [unrolled: 1-line block ×4, first 2 shown]
	v_fmamk_f16 v26, v14, 0x31e1, v29
	v_add_f16_e32 v39, v77, v39
	v_fma_f16 v77, v10, 0xb461, -v124
	v_add_f16_e32 v82, v85, v82
	v_add_f16_e32 v83, v186, v83
	v_fma_f16 v85, v7, 0x39e9, -v247
	v_fmac_f16_e32 v29, 0xb1e1, v14
	v_add_f16_e32 v26, v26, v113
	v_add_f16_e32 v37, v102, v37
	;; [unrolled: 1-line block ×4, first 2 shown]
	v_fma_f16 v85, v13, 0x3b76, -v12
	v_add_f16_e32 v24, v114, v24
	v_add_f16_e32 v37, v96, v37
	;; [unrolled: 1-line block ×3, first 2 shown]
	v_mov_b32_e32 v144, v147
	v_add_f16_e32 v82, v85, v82
	v_fma_f16 v85, v15, 0x2de8, -v167
	v_add_f16_e32 v37, v105, v37
	v_add_f16_e32 v83, v127, v83
	v_mov_b32_e32 v147, v149
	v_mov_b32_e32 v149, v151
	v_add_f16_e32 v82, v85, v82
	v_fma_f16 v85, v10, 0x2de8, -v235
	v_add_f16_e32 v8, v254, v83
	v_add_f16_e32 v83, v86, v128
	v_fma_f16 v10, v10, 0x39e9, -v111
	v_add_f16_e32 v37, v104, v37
	;; [unrolled: 3-line block ×3, first 2 shown]
	v_add_f16_e32 v2, v229, v8
	v_add_f16_e32 v37, v110, v37
	v_mov_b32_e32 v151, v153
	v_add_f16_e32 v6, v85, v6
	v_mov_b32_e32 v153, v155
	v_add_f16_e32 v2, v101, v2
	v_add_f16_e32 v37, v174, v37
	v_mov_b32_e32 v155, v157
	v_mov_b32_e32 v157, v159
	;; [unrolled: 1-line block ×10, first 2 shown]
	s_waitcnt vmcnt(0)
	v_fma_f16 v46, v5, 0x39e9, -v46
	v_add_f16_e32 v34, v46, v34
	v_fma_f16 v46, v9, 0x2de8, -v122
	v_add_f16_e32 v39, v46, v39
	buffer_load_dword v46, off, s[20:23], 0 offset:40 ; 4-byte Folded Reload
	s_waitcnt vmcnt(0)
	v_fma_f16 v46, v7, 0xb8d2, -v46
	v_add_f16_e32 v34, v46, v34
	v_fma_f16 v46, v5, 0xb8d2, -v16
	v_add_f16_e32 v39, v46, v39
	v_fma_f16 v46, v13, 0x3722, -v80
	v_fma_f16 v80, v9, 0x39e9, -v125
	v_add_f16_e32 v34, v46, v34
	v_fma_f16 v46, v7, 0x3b76, -v47
	v_fma_f16 v47, v11, 0xb8d2, -v123
	v_add_f16_e32 v39, v46, v39
	v_add_f16_e32 v47, v192, v47
	v_fma_f16 v46, v15, 0xb461, -v78
	v_fma_f16 v78, v5, 0xbacd, -v177
	v_add_f16_e32 v47, v77, v47
	v_fma_f16 v77, v9, 0x3b76, -v18
	v_add_f16_e32 v34, v46, v34
	;; [unrolled: 2-line block ×3, first 2 shown]
	v_add_f16_e32 v77, v86, v203
	v_add_f16_e32 v39, v46, v39
	v_fma_f16 v46, v17, 0x2de8, -v106
	v_add_f16_e32 v47, v78, v47
	v_fma_f16 v78, v7, 0x2de8, -v173
	v_add_f16_e32 v77, v204, v77
	v_add_f16_e32 v34, v46, v34
	v_fma_f16 v46, v15, 0x39e9, -v183
	v_add_f16_e32 v47, v78, v47
	v_fma_f16 v78, v13, 0x39e9, -v193
	v_add_f16_e32 v77, v206, v77
	v_add_f16_e32 v39, v46, v39
	v_fma_f16 v46, v17, 0xb461, -v202
	v_add_f16_e32 v47, v78, v47
	v_fma_f16 v78, v15, 0xbbdd, -v198
	v_add_f16_e32 v77, v211, v77
	v_add_f16_e32 v39, v46, v39
	;; [unrolled: 1-line block ×4, first 2 shown]
	v_fma_f16 v78, v17, 0x3722, -v225
	v_add_f16_e32 v77, v218, v77
	v_add_f16_e32 v46, v97, v46
	v_add_nc_u32_e32 v225, 0x110, v129
	v_add_f16_e32 v47, v78, v47
	v_fma_f16 v78, v11, 0xb461, -v182
	v_add_f16_e32 v46, v98, v46
	v_add_f16_e32 v77, v215, v77
	;; [unrolled: 1-line block ×10, first 2 shown]
	v_fma_f16 v80, v11, 0x2de8, -v233
	v_fma_f16 v11, v11, 0x3b76, -v112
	v_add_f16_e32 v79, v209, v79
	v_add_f16_e32 v46, v100, v46
	;; [unrolled: 1-line block ×7, first 2 shown]
	v_fma_f16 v81, v5, 0x3722, -v171
	v_add_f16_e32 v1, v10, v11
	v_fma_f16 v11, v7, 0xbacd, -v240
	v_add_f16_e32 v79, v219, v79
	v_add_f16_e32 v46, v172, v46
	;; [unrolled: 1-line block ×3, first 2 shown]
	v_fma_f16 v81, v9, 0xb461, -v237
	v_fma_f16 v9, v9, 0x3722, -v43
	v_add_f16_e32 v79, v223, v79
	v_add_f16_e32 v80, v81, v80
	v_fma_f16 v81, v7, 0xbbdd, -v19
	v_add_f16_e32 v1, v9, v1
	v_fma_f16 v9, v13, 0xb461, -v246
	v_add_f16_e32 v79, v222, v79
	v_add_f16_e32 v78, v81, v78
	v_fma_f16 v81, v5, 0x3b76, -v244
	v_add_f16_e32 v79, v228, v79
	v_add_f16_e32 v80, v81, v80
	v_fma_f16 v81, v13, 0x2de8, -v180
	v_add_f16_e32 v79, v248, v79
	v_add_f16_e32 v78, v81, v78
	v_fma_f16 v81, v7, 0x3722, -v243
	v_add_f16_e32 v80, v81, v80
	v_fma_f16 v81, v15, 0x3b76, -v196
	v_add_f16_e32 v78, v81, v78
	v_fma_f16 v81, v13, 0xbacd, -v249
	v_add_f16_e32 v80, v81, v80
	v_fma_f16 v81, v17, 0xb8d2, -v224
	v_mov_b32_e32 v224, v30
	v_add_f16_e32 v78, v81, v78
	v_fma_f16 v81, v15, 0xb8d2, -v252
	v_add_f16_e32 v80, v81, v80
	v_fma_f16 v81, v17, 0x39e9, -v140
	v_add_f16_e32 v80, v81, v80
	v_add_f16_e32 v81, v86, v226
	v_fma_f16 v86, v17, 0xbacd, -v236
	v_mov_b32_e32 v226, v21
	v_add_f16_e32 v81, v212, v81
	v_add_f16_e32 v0, v86, v82
	;; [unrolled: 1-line block ×3, first 2 shown]
	v_fma_f16 v83, v5, 0xbbdd, -v242
	v_fma_f16 v5, v5, 0x2de8, -v41
	v_add_f16_e32 v81, v213, v81
	v_add_f16_e32 v10, v42, v82
	;; [unrolled: 1-line block ×8, first 2 shown]
	v_fma_f16 v3, v13, 0xb8d2, -v33
	v_pack_b32_f16 v10, v31, v94
	v_add_f16_e32 v7, v36, v8
	v_add_f16_e32 v5, v9, v6
	v_fma_f16 v6, v15, 0x3722, -v230
	v_add_f16_e32 v1, v3, v1
	v_fma_f16 v3, v15, 0xbacd, -v28
	v_pack_b32_f16 v8, v27, v26
	v_pack_b32_f16 v11, v201, v115
	v_add_f16_e32 v4, v6, v5
	v_fma_f16 v5, v17, 0x3b76, -v32
	v_add_f16_e32 v6, v40, v7
	v_pack_b32_f16 v7, v23, v22
	v_add_f16_e32 v1, v3, v1
	v_fma_f16 v3, v17, 0xbbdd, -v25
	v_add_f16_e32 v4, v5, v4
	v_add_f16_e32 v5, v29, v6
	s_clause 0x2
	buffer_load_dword v6, off, s[20:23], 0
	buffer_load_dword v12, off, s[20:23], 0 offset:28
	buffer_load_dword v14, off, s[20:23], 0 offset:32
	v_pack_b32_f16 v13, v84, v45
	v_add_f16_e32 v1, v3, v1
	v_add_f16_e32 v81, v221, v81
	v_pack_b32_f16 v2, v4, v2
	v_pack_b32_f16 v1, v1, v5
	v_add_f16_e32 v81, v220, v81
	v_add_f16_e32 v81, v227, v81
	v_mov_b32_e32 v227, v20
	v_add_f16_e32 v81, v217, v81
	v_pack_b32_f16 v0, v0, v81
	s_waitcnt vmcnt(2)
	v_lshl_add_u32 v6, v38, 2, v6
	s_waitcnt vmcnt(0)
	v_pack_b32_f16 v14, v14, v12
	s_clause 0x1
	buffer_load_dword v12, off, s[20:23], 0 offset:20
	buffer_load_dword v15, off, s[20:23], 0 offset:24
	v_add_nc_u32_e32 v9, 0x400, v6
	v_add_nc_u32_e32 v18, 0x800, v6
	s_waitcnt vmcnt(0)
	v_pack_b32_f16 v15, v15, v12
	s_clause 0x1
	buffer_load_dword v12, off, s[20:23], 0 offset:12
	buffer_load_dword v16, off, s[20:23], 0 offset:16
	s_waitcnt vmcnt(0)
	v_pack_b32_f16 v17, v16, v12
	ds_write2_b32 v9, v7, v8 offset0:220 offset1:227
	ds_write2_b32 v9, v10, v11 offset0:234 offset1:241
	;; [unrolled: 1-line block ×4, first 2 shown]
	s_clause 0x1
	buffer_load_dword v3, off, s[20:23], 0 offset:4
	buffer_load_dword v7, off, s[20:23], 0 offset:8
	v_pack_b32_f16 v8, v39, v37
	v_pack_b32_f16 v9, v47, v46
	;; [unrolled: 1-line block ×4, first 2 shown]
	s_waitcnt vmcnt(0)
	v_pack_b32_f16 v3, v7, v3
	v_pack_b32_f16 v7, v34, v24
	ds_write2_b32 v18, v3, v7 offset0:20 offset1:27
	ds_write2_b32 v18, v8, v9 offset0:34 offset1:41
	;; [unrolled: 1-line block ×4, first 2 shown]
	ds_write_b32 v6, v1 offset:2352
.LBB0_9:
	s_or_b32 exec_lo, exec_lo, s0
	v_add_nc_u32_e32 v13, 0x400, v129
	s_waitcnt lgkmcnt(0)
	s_waitcnt_vscnt null, 0x0
	s_barrier
	buffer_gl0_inv
	ds_read2_b32 v[2:3], v129 offset1:17
	ds_read2_b32 v[0:1], v129 offset0:102 offset1:119
	ds_read2_b32 v[18:19], v129 offset0:238 offset1:255
	;; [unrolled: 1-line block ×7, first 2 shown]
	v_add_nc_u32_e32 v10, 0x600, v129
	ds_read2_b32 v[29:30], v129 offset0:170 offset1:187
	ds_read2_b32 v[6:7], v129 offset0:68 offset1:85
	;; [unrolled: 1-line block ×5, first 2 shown]
	v_add_nc_u32_e32 v14, 0x800, v129
	ds_read2_b32 v[39:40], v13 offset0:50 offset1:67
	ds_read2_b32 v[44:45], v129 offset0:204 offset1:221
	;; [unrolled: 1-line block ×3, first 2 shown]
	ds_read_b32 v86, v129 offset:2312
	ds_read2_b32 v[42:43], v14 offset0:32 offset1:49
	s_mov_b32 s2, 0x1b89401c
	s_waitcnt lgkmcnt(16)
	v_lshrrev_b32_e32 v22, 16, v1
	s_waitcnt lgkmcnt(15)
	v_lshrrev_b32_e32 v37, 16, v18
	v_mul_f16_sdwa v100, v52, v1 dst_sel:DWORD dst_unused:UNUSED_PAD src0_sel:WORD_1 src1_sel:DWORD
	s_waitcnt lgkmcnt(14)
	v_lshrrev_b32_e32 v79, 16, v21
	s_waitcnt lgkmcnt(12)
	v_lshrrev_b32_e32 v46, 16, v25
	v_mul_f16_sdwa v99, v52, v22 dst_sel:DWORD dst_unused:UNUSED_PAD src0_sel:WORD_1 src1_sel:DWORD
	s_waitcnt lgkmcnt(11)
	v_lshrrev_b32_e32 v77, 16, v27
	v_lshrrev_b32_e32 v38, 16, v20
	;; [unrolled: 1-line block ×3, first 2 shown]
	v_mul_f16_sdwa v105, v55, v46 dst_sel:DWORD dst_unused:UNUSED_PAD src0_sel:WORD_1 src1_sel:DWORD
	v_fmac_f16_e32 v99, v52, v1
	v_fma_f16 v52, v52, v22, -v100
	v_mul_f16_sdwa v100, v53, v37 dst_sel:DWORD dst_unused:UNUSED_PAD src0_sel:WORD_1 src1_sel:DWORD
	v_mul_f16_sdwa v1, v53, v18 dst_sel:DWORD dst_unused:UNUSED_PAD src0_sel:WORD_1 src1_sel:DWORD
	s_waitcnt lgkmcnt(6)
	v_lshrrev_b32_e32 v84, 16, v33
	v_lshrrev_b32_e32 v47, 16, v19
	;; [unrolled: 1-line block ×3, first 2 shown]
	v_fmac_f16_e32 v100, v53, v18
	v_fma_f16 v53, v53, v37, -v1
	v_mul_f16_sdwa v1, v55, v25 dst_sel:DWORD dst_unused:UNUSED_PAD src0_sel:WORD_1 src1_sel:DWORD
	v_mul_f16_sdwa v18, v48, v20 dst_sel:DWORD dst_unused:UNUSED_PAD src0_sel:WORD_1 src1_sel:DWORD
	v_lshrrev_b32_e32 v87, 16, v32
	v_mul_f16_sdwa v22, v54, v24 dst_sel:DWORD dst_unused:UNUSED_PAD src0_sel:WORD_1 src1_sel:DWORD
	v_mul_f16_sdwa v119, v63, v84 dst_sel:DWORD dst_unused:UNUSED_PAD src0_sel:WORD_1 src1_sel:DWORD
	v_fma_f16 v46, v55, v46, -v1
	v_mul_f16_sdwa v1, v50, v27 dst_sel:DWORD dst_unused:UNUSED_PAD src0_sel:WORD_1 src1_sel:DWORD
	v_fma_f16 v109, v48, v38, -v18
	v_mul_f16_sdwa v18, v51, v26 dst_sel:DWORD dst_unused:UNUSED_PAD src0_sel:WORD_1 src1_sel:DWORD
	v_lshrrev_b32_e32 v82, 16, v31
	v_lshrrev_b32_e32 v83, 16, v28
	v_fma_f16 v114, v50, v77, -v1
	v_mul_f16_sdwa v1, v60, v21 dst_sel:DWORD dst_unused:UNUSED_PAD src0_sel:WORD_1 src1_sel:DWORD
	v_lshrrev_b32_e32 v90, 16, v30
	v_fma_f16 v106, v54, v41, -v22
	v_mul_f16_sdwa v108, v49, v47 dst_sel:DWORD dst_unused:UNUSED_PAD src0_sel:WORD_1 src1_sel:DWORD
	v_mul_f16_sdwa v22, v49, v19 dst_sel:DWORD dst_unused:UNUSED_PAD src0_sel:WORD_1 src1_sel:DWORD
	v_fma_f16 v118, v60, v79, -v1
	v_mul_f16_sdwa v1, v63, v33 dst_sel:DWORD dst_unused:UNUSED_PAD src0_sel:WORD_1 src1_sel:DWORD
	v_mul_f16_sdwa v112, v51, v78 dst_sel:DWORD dst_unused:UNUSED_PAD src0_sel:WORD_1 src1_sel:DWORD
	v_fma_f16 v115, v51, v78, -v18
	v_mul_f16_sdwa v18, v61, v31 dst_sel:DWORD dst_unused:UNUSED_PAD src0_sel:WORD_1 src1_sel:DWORD
	v_lshrrev_b32_e32 v85, 16, v29
	v_fma_f16 v84, v63, v84, -v1
	v_mul_f16_sdwa v1, v57, v32 dst_sel:DWORD dst_unused:UNUSED_PAD src0_sel:WORD_1 src1_sel:DWORD
	s_waitcnt lgkmcnt(5)
	v_lshrrev_b32_e32 v88, 16, v35
	v_lshrrev_b32_e32 v92, 16, v36
	v_fmac_f16_e32 v108, v49, v19
	v_fma_f16 v110, v49, v47, -v22
	v_fma_f16 v78, v57, v87, -v1
	v_mul_f16_sdwa v1, v68, v30 dst_sel:DWORD dst_unused:UNUSED_PAD src0_sel:WORD_1 src1_sel:DWORD
	v_mul_f16_sdwa v116, v61, v82 dst_sel:DWORD dst_unused:UNUSED_PAD src0_sel:WORD_1 src1_sel:DWORD
	;; [unrolled: 1-line block ×4, first 2 shown]
	v_fma_f16 v82, v61, v82, -v18
	v_mul_f16_sdwa v18, v56, v29 dst_sel:DWORD dst_unused:UNUSED_PAD src0_sel:WORD_1 src1_sel:DWORD
	v_fma_f16 v47, v68, v90, -v1
	v_mul_f16_sdwa v1, v70, v36 dst_sel:DWORD dst_unused:UNUSED_PAD src0_sel:WORD_1 src1_sel:DWORD
	s_waitcnt lgkmcnt(4)
	v_lshrrev_b32_e32 v95, 16, v40
	v_mul_f16_sdwa v104, v54, v41 dst_sel:DWORD dst_unused:UNUSED_PAD src0_sel:WORD_1 src1_sel:DWORD
	v_fmac_f16_e32 v112, v51, v26
	v_fmac_f16_e32 v117, v62, v28
	v_fma_f16 v83, v62, v83, -v19
	v_mul_f16_sdwa v120, v56, v85 dst_sel:DWORD dst_unused:UNUSED_PAD src0_sel:WORD_1 src1_sel:DWORD
	v_fma_f16 v62, v56, v85, -v18
	v_mul_f16_sdwa v85, v58, v88 dst_sel:DWORD dst_unused:UNUSED_PAD src0_sel:WORD_1 src1_sel:DWORD
	;; [unrolled: 2-line block ×3, first 2 shown]
	s_waitcnt lgkmcnt(0)
	v_lshrrev_b32_e32 v93, 16, v42
	v_lshrrev_b32_e32 v97, 16, v43
	v_fmac_f16_e32 v104, v54, v24
	v_mul_f16_sdwa v111, v50, v77 dst_sel:DWORD dst_unused:UNUSED_PAD src0_sel:WORD_1 src1_sel:DWORD
	v_mul_f16_sdwa v18, v58, v35 dst_sel:DWORD dst_unused:UNUSED_PAD src0_sel:WORD_1 src1_sel:DWORD
	v_fmac_f16_e32 v85, v58, v35
	v_fma_f16 v35, v65, v95, -v1
	v_mul_f16_sdwa v1, v67, v43 dst_sel:DWORD dst_unused:UNUSED_PAD src0_sel:WORD_1 src1_sel:DWORD
	v_lshrrev_b32_e32 v89, 16, v34
	v_lshrrev_b32_e32 v91, 16, v39
	;; [unrolled: 1-line block ×3, first 2 shown]
	v_fmac_f16_e32 v105, v55, v25
	v_mul_f16_sdwa v107, v48, v38 dst_sel:DWORD dst_unused:UNUSED_PAD src0_sel:WORD_1 src1_sel:DWORD
	v_mul_f16_sdwa v113, v60, v79 dst_sel:DWORD dst_unused:UNUSED_PAD src0_sel:WORD_1 src1_sel:DWORD
	v_fmac_f16_e32 v111, v50, v27
	v_mul_f16_sdwa v77, v57, v87 dst_sel:DWORD dst_unused:UNUSED_PAD src0_sel:WORD_1 src1_sel:DWORD
	v_mul_f16_sdwa v19, v59, v34 dst_sel:DWORD dst_unused:UNUSED_PAD src0_sel:WORD_1 src1_sel:DWORD
	v_fma_f16 v79, v58, v88, -v18
	v_mul_f16_sdwa v55, v68, v90 dst_sel:DWORD dst_unused:UNUSED_PAD src0_sel:WORD_1 src1_sel:DWORD
	v_mul_f16_sdwa v18, v69, v39 dst_sel:DWORD dst_unused:UNUSED_PAD src0_sel:WORD_1 src1_sel:DWORD
	;; [unrolled: 1-line block ×4, first 2 shown]
	v_fma_f16 v41, v67, v97, -v1
	v_add_f16_e32 v1, v100, v104
	v_add_f16_e32 v25, v2, v99
	v_lshrrev_b32_e32 v16, 16, v2
	v_lshrrev_b32_e32 v94, 16, v44
	;; [unrolled: 1-line block ×4, first 2 shown]
	v_fmac_f16_e32 v107, v48, v20
	v_fmac_f16_e32 v113, v60, v21
	;; [unrolled: 1-line block ×4, first 2 shown]
	v_mul_f16_sdwa v121, v59, v89 dst_sel:DWORD dst_unused:UNUSED_PAD src0_sel:WORD_1 src1_sel:DWORD
	v_fma_f16 v87, v59, v89, -v19
	v_fmac_f16_e32 v55, v68, v30
	v_fma_f16 v48, v69, v91, -v18
	v_fmac_f16_e32 v50, v70, v36
	v_mul_f16_sdwa v18, v71, v42 dst_sel:DWORD dst_unused:UNUSED_PAD src0_sel:WORD_1 src1_sel:DWORD
	v_mul_f16_sdwa v19, v64, v44 dst_sel:DWORD dst_unused:UNUSED_PAD src0_sel:WORD_1 src1_sel:DWORD
	v_fmac_f16_e32 v58, v71, v42
	v_mul_f16_sdwa v36, v65, v95 dst_sel:DWORD dst_unused:UNUSED_PAD src0_sel:WORD_1 src1_sel:DWORD
	v_mul_f16_sdwa v42, v67, v97 dst_sel:DWORD dst_unused:UNUSED_PAD src0_sel:WORD_1 src1_sel:DWORD
	v_mul_f16_sdwa v20, v73, v101 dst_sel:DWORD dst_unused:UNUSED_PAD src0_sel:WORD_1 src1_sel:DWORD
	v_mul_f16_sdwa v21, v74, v81 dst_sel:DWORD dst_unused:UNUSED_PAD src0_sel:WORD_1 src1_sel:DWORD
	v_fma_f16 v1, -0.5, v1, v2
	v_sub_f16_e32 v30, v52, v46
	v_add_f16_e32 v25, v25, v100
	v_sub_f16_e32 v26, v99, v100
	v_sub_f16_e32 v27, v105, v104
	v_add_f16_e32 v32, v99, v105
	v_mul_f16_sdwa v33, v75, v86 dst_sel:DWORD dst_unused:UNUSED_PAD src0_sel:WORD_1 src1_sel:DWORD
	v_lshrrev_b32_e32 v98, 16, v45
	v_fmac_f16_e32 v116, v61, v31
	v_fmac_f16_e32 v121, v59, v34
	v_mul_f16_sdwa v49, v69, v91 dst_sel:DWORD dst_unused:UNUSED_PAD src0_sel:WORD_1 src1_sel:DWORD
	v_fma_f16 v31, v64, v94, -v19
	v_fmac_f16_e32 v36, v65, v40
	v_fmac_f16_e32 v42, v67, v43
	v_mul_f16_sdwa v19, v73, v23 dst_sel:DWORD dst_unused:UNUSED_PAD src0_sel:WORD_1 src1_sel:DWORD
	v_fmac_f16_e32 v20, v73, v23
	v_fma_f16 v23, v74, v102, -v21
	v_fmamk_f16 v21, v30, 0xbb9c, v1
	v_sub_f16_e32 v28, v53, v106
	v_add_f16_e32 v25, v25, v104
	v_add_f16_e32 v34, v26, v27
	v_fma_f16 v2, -0.5, v32, v2
	v_fma_f16 v27, v75, v103, -v33
	v_fmac_f16_e32 v1, 0x3b9c, v30
	v_sub_f16_e32 v32, v100, v99
	v_sub_f16_e32 v33, v104, v105
	v_add_f16_e32 v40, v16, v52
	v_add_f16_e32 v43, v53, v106
	v_lshrrev_b32_e32 v96, 16, v80
	v_fmac_f16_e32 v49, v69, v39
	v_mul_f16_sdwa v39, v64, v94 dst_sel:DWORD dst_unused:UNUSED_PAD src0_sel:WORD_1 src1_sel:DWORD
	v_fma_f16 v54, v71, v93, -v18
	v_mul_f16_sdwa v18, v66, v80 dst_sel:DWORD dst_unused:UNUSED_PAD src0_sel:WORD_1 src1_sel:DWORD
	v_mul_f16_sdwa v22, v72, v98 dst_sel:DWORD dst_unused:UNUSED_PAD src0_sel:WORD_1 src1_sel:DWORD
	v_fmac_f16_e32 v21, 0xb8b4, v28
	v_add_f16_e32 v26, v25, v105
	v_fmamk_f16 v25, v28, 0x3b9c, v2
	v_fmac_f16_e32 v1, 0x38b4, v28
	v_add_f16_e32 v32, v32, v33
	v_fmac_f16_e32 v2, 0xbb9c, v28
	v_add_f16_e32 v33, v40, v53
	v_fma_f16 v28, -0.5, v43, v16
	v_sub_f16_e32 v43, v99, v105
	v_fmac_f16_e32 v39, v64, v44
	v_fma_f16 v37, v66, v96, -v18
	v_mul_f16_sdwa v18, v72, v45 dst_sel:DWORD dst_unused:UNUSED_PAD src0_sel:WORD_1 src1_sel:DWORD
	v_fmac_f16_e32 v22, v72, v45
	v_fmac_f16_e32 v21, 0x34f2, v34
	;; [unrolled: 1-line block ×5, first 2 shown]
	v_add_f16_e32 v33, v33, v106
	v_fmamk_f16 v30, v43, 0x3b9c, v28
	v_add_f16_e32 v34, v52, v46
	v_sub_f16_e32 v40, v100, v104
	v_sub_f16_e32 v44, v52, v53
	;; [unrolled: 1-line block ×3, first 2 shown]
	v_fmac_f16_e32 v28, 0xbb9c, v43
	v_fmac_f16_e32 v25, 0x34f2, v32
	v_fmac_f16_e32 v2, 0x34f2, v32
	v_fmac_f16_e32 v16, -0.5, v34
	v_add_f16_e32 v32, v33, v46
	v_fmac_f16_e32 v30, 0x38b4, v40
	v_add_f16_e32 v44, v44, v45
	v_sub_f16_e32 v34, v53, v52
	v_sub_f16_e32 v45, v106, v46
	v_add_f16_e32 v46, v108, v111
	v_fmac_f16_e32 v28, 0xb8b4, v40
	v_add_f16_e32 v52, v3, v107
	v_fmamk_f16 v33, v40, 0xbb9c, v16
	v_fmac_f16_e32 v30, 0x34f2, v44
	v_add_f16_e32 v45, v34, v45
	v_fma_f16 v34, -0.5, v46, v3
	v_sub_f16_e32 v46, v109, v115
	v_fmac_f16_e32 v28, 0x34f2, v44
	v_fmac_f16_e32 v16, 0x3b9c, v40
	v_add_f16_e32 v44, v52, v108
	v_add_f16_e32 v57, v107, v112
	v_lshrrev_b32_e32 v9, 16, v3
	v_fmac_f16_e32 v120, v56, v29
	v_fmac_f16_e32 v33, 0x38b4, v43
	v_fmamk_f16 v40, v46, 0xbb9c, v34
	v_sub_f16_e32 v52, v110, v114
	v_sub_f16_e32 v53, v107, v108
	;; [unrolled: 1-line block ×3, first 2 shown]
	v_fmac_f16_e32 v16, 0xb8b4, v43
	v_add_f16_e32 v43, v44, v111
	v_fmac_f16_e32 v3, -0.5, v57
	v_fmac_f16_e32 v34, 0x3b9c, v46
	v_fmac_f16_e32 v33, 0x34f2, v45
	;; [unrolled: 1-line block ×3, first 2 shown]
	v_add_f16_e32 v53, v53, v56
	v_fmac_f16_e32 v16, 0x34f2, v45
	v_add_f16_e32 v44, v43, v112
	v_fmamk_f16 v43, v52, 0x3b9c, v3
	v_sub_f16_e32 v45, v108, v107
	v_sub_f16_e32 v56, v111, v112
	v_fmac_f16_e32 v34, 0x38b4, v52
	v_add_f16_e32 v59, v110, v114
	v_fmac_f16_e32 v3, 0xbb9c, v52
	v_fmac_f16_e32 v40, 0x34f2, v53
	v_add_f16_e32 v57, v9, v109
	v_fmac_f16_e32 v43, 0xb8b4, v46
	v_add_f16_e32 v56, v45, v56
	v_fma_f16 v45, -0.5, v59, v9
	v_sub_f16_e32 v59, v107, v112
	v_fmac_f16_e32 v34, 0x34f2, v53
	v_fmac_f16_e32 v3, 0x38b4, v46
	v_add_f16_e32 v53, v109, v115
	v_sub_f16_e32 v60, v109, v110
	v_sub_f16_e32 v61, v115, v114
	v_add_f16_e32 v52, v57, v110
	v_fmac_f16_e32 v43, 0x34f2, v56
	v_fmamk_f16 v46, v59, 0x3b9c, v45
	v_sub_f16_e32 v57, v108, v111
	v_fmac_f16_e32 v3, 0x34f2, v56
	v_fmac_f16_e32 v9, -0.5, v53
	v_add_f16_e32 v60, v60, v61
	v_fmac_f16_e32 v45, 0xbb9c, v59
	v_sub_f16_e32 v56, v110, v109
	v_sub_f16_e32 v61, v114, v115
	v_add_f16_e32 v63, v116, v117
	v_mul_f16_sdwa v38, v66, v96 dst_sel:DWORD dst_unused:UNUSED_PAD src0_sel:WORD_1 src1_sel:DWORD
	v_fmac_f16_e32 v46, 0x38b4, v57
	v_fmamk_f16 v53, v57, 0xbb9c, v9
	v_fmac_f16_e32 v45, 0xb8b4, v57
	v_add_f16_e32 v61, v56, v61
	v_add_f16_e32 v64, v4, v113
	v_fma_f16 v56, -0.5, v63, v4
	v_sub_f16_e32 v63, v118, v84
	v_fmac_f16_e32 v9, 0x3b9c, v57
	v_lshrrev_b32_e32 v17, 16, v4
	v_fmac_f16_e32 v38, v66, v80
	v_fmac_f16_e32 v46, 0x34f2, v60
	;; [unrolled: 1-line block ×4, first 2 shown]
	v_add_f16_e32 v60, v64, v116
	v_fmamk_f16 v57, v63, 0xbb9c, v56
	v_sub_f16_e32 v64, v82, v83
	v_sub_f16_e32 v65, v113, v116
	;; [unrolled: 1-line block ×3, first 2 shown]
	v_add_f16_e32 v67, v113, v119
	v_fmac_f16_e32 v9, 0xb8b4, v59
	v_fmac_f16_e32 v56, 0x3b9c, v63
	;; [unrolled: 1-line block ×4, first 2 shown]
	v_add_f16_e32 v65, v65, v66
	v_fma_f16 v4, -0.5, v67, v4
	v_fmac_f16_e32 v9, 0x34f2, v61
	v_sub_f16_e32 v61, v116, v113
	v_sub_f16_e32 v66, v117, v119
	v_fmac_f16_e32 v56, 0x38b4, v64
	v_add_f16_e32 v67, v17, v118
	v_add_f16_e32 v68, v82, v83
	;; [unrolled: 1-line block ×3, first 2 shown]
	v_fmac_f16_e32 v57, 0x34f2, v65
	v_fmamk_f16 v60, v64, 0x3b9c, v4
	v_add_f16_e32 v66, v61, v66
	v_fmac_f16_e32 v4, 0xbb9c, v64
	v_add_f16_e32 v64, v67, v82
	v_fma_f16 v61, -0.5, v68, v17
	v_sub_f16_e32 v67, v113, v119
	v_fmac_f16_e32 v56, 0x34f2, v65
	v_add_f16_e32 v65, v118, v84
	v_sub_f16_e32 v69, v118, v82
	v_sub_f16_e32 v70, v84, v83
	v_mul_f16_sdwa v24, v74, v102 dst_sel:DWORD dst_unused:UNUSED_PAD src0_sel:WORD_1 src1_sel:DWORD
	v_mul_f16_sdwa v29, v75, v103 dst_sel:DWORD dst_unused:UNUSED_PAD src0_sel:WORD_1 src1_sel:DWORD
	v_fmac_f16_e32 v60, 0xb8b4, v63
	v_fmac_f16_e32 v4, 0x38b4, v63
	v_fmamk_f16 v63, v67, 0x3b9c, v61
	v_sub_f16_e32 v68, v116, v117
	v_fmac_f16_e32 v17, -0.5, v65
	v_add_f16_e32 v65, v69, v70
	v_fmac_f16_e32 v61, 0xbb9c, v67
	v_sub_f16_e32 v69, v82, v118
	v_sub_f16_e32 v70, v83, v84
	v_add_f16_e32 v71, v77, v85
	v_lshrrev_b32_e32 v12, 16, v5
	v_fma_f16 v18, v72, v98, -v18
	v_fma_f16 v19, v73, v101, -v19
	v_fmac_f16_e32 v24, v74, v81
	v_fmac_f16_e32 v29, v75, v86
	;; [unrolled: 1-line block ×5, first 2 shown]
	v_fmamk_f16 v66, v68, 0xbb9c, v17
	v_fmac_f16_e32 v61, 0xb8b4, v68
	v_add_f16_e32 v69, v69, v70
	v_add_f16_e32 v70, v5, v120
	v_fma_f16 v71, -0.5, v71, v5
	v_sub_f16_e32 v72, v62, v87
	v_fmac_f16_e32 v17, 0x3b9c, v68
	v_sub_f16_e32 v73, v120, v77
	v_sub_f16_e32 v74, v121, v85
	v_add_f16_e32 v75, v120, v121
	v_fmac_f16_e32 v63, 0x34f2, v65
	v_fmac_f16_e32 v66, 0x38b4, v67
	;; [unrolled: 1-line block ×3, first 2 shown]
	v_add_f16_e32 v65, v70, v77
	v_fmamk_f16 v68, v72, 0xbb9c, v71
	v_sub_f16_e32 v70, v78, v79
	v_fmac_f16_e32 v17, 0xb8b4, v67
	v_add_f16_e32 v67, v73, v74
	v_fmac_f16_e32 v5, -0.5, v75
	v_fmac_f16_e32 v71, 0x3b9c, v72
	v_sub_f16_e32 v73, v77, v120
	v_sub_f16_e32 v74, v85, v121
	v_add_f16_e32 v75, v12, v62
	v_add_f16_e32 v80, v78, v79
	v_fmac_f16_e32 v66, 0x34f2, v69
	v_fmac_f16_e32 v68, 0xb8b4, v70
	;; [unrolled: 1-line block ×3, first 2 shown]
	v_fmamk_f16 v69, v70, 0x3b9c, v5
	v_fmac_f16_e32 v71, 0x38b4, v70
	v_add_f16_e32 v73, v73, v74
	v_fmac_f16_e32 v5, 0xbb9c, v70
	v_add_f16_e32 v70, v75, v78
	v_fma_f16 v74, -0.5, v80, v12
	v_sub_f16_e32 v75, v120, v121
	v_fmac_f16_e32 v68, 0x34f2, v67
	v_fmac_f16_e32 v69, 0xb8b4, v72
	;; [unrolled: 1-line block ×4, first 2 shown]
	v_add_f16_e32 v67, v70, v79
	v_fmamk_f16 v70, v75, 0x3b9c, v74
	v_add_f16_e32 v72, v62, v87
	v_sub_f16_e32 v77, v77, v85
	v_sub_f16_e32 v80, v62, v78
	;; [unrolled: 1-line block ×3, first 2 shown]
	v_fmac_f16_e32 v74, 0xbb9c, v75
	v_sub_f16_e32 v62, v78, v62
	v_sub_f16_e32 v78, v79, v87
	v_fmac_f16_e32 v12, -0.5, v72
	v_fmac_f16_e32 v70, 0x38b4, v77
	v_add_f16_e32 v72, v80, v81
	v_add_f16_e32 v79, v49, v50
	v_fmac_f16_e32 v74, 0xb8b4, v77
	v_add_f16_e32 v62, v62, v78
	v_add_f16_e32 v78, v6, v55
	v_lshrrev_b32_e32 v15, 16, v6
	v_add_f16_e32 v64, v64, v83
	v_fmac_f16_e32 v69, 0x34f2, v73
	v_fmac_f16_e32 v5, 0x34f2, v73
	v_fmamk_f16 v73, v77, 0xbb9c, v12
	v_fmac_f16_e32 v70, 0x34f2, v72
	v_fma_f16 v79, -0.5, v79, v6
	v_sub_f16_e32 v80, v47, v54
	v_fmac_f16_e32 v74, 0x34f2, v72
	v_fmac_f16_e32 v12, 0x3b9c, v77
	v_add_f16_e32 v72, v78, v49
	v_add_f16_e32 v83, v55, v58
	v_fmac_f16_e32 v73, 0x38b4, v75
	v_fmamk_f16 v77, v80, 0xbb9c, v79
	v_sub_f16_e32 v78, v48, v51
	v_sub_f16_e32 v81, v55, v49
	v_sub_f16_e32 v82, v58, v50
	v_fmac_f16_e32 v12, 0xb8b4, v75
	v_add_f16_e32 v72, v72, v50
	v_fma_f16 v6, -0.5, v83, v6
	v_fmac_f16_e32 v79, 0x3b9c, v80
	v_add_f16_e32 v83, v15, v47
	v_add_f16_e32 v64, v64, v84
	v_fmac_f16_e32 v73, 0x34f2, v62
	v_fmac_f16_e32 v77, 0xb8b4, v78
	v_add_f16_e32 v75, v81, v82
	v_fmac_f16_e32 v12, 0x34f2, v62
	v_add_f16_e32 v62, v72, v58
	v_fmamk_f16 v72, v78, 0x3b9c, v6
	v_sub_f16_e32 v81, v49, v55
	v_sub_f16_e32 v82, v50, v58
	v_fmac_f16_e32 v79, 0x38b4, v78
	v_add_f16_e32 v84, v48, v51
	v_fmac_f16_e32 v6, 0xbb9c, v78
	v_add_f16_e32 v78, v83, v48
	v_add_f16_e32 v81, v81, v82
	v_sub_f16_e32 v55, v55, v58
	v_fma_f16 v82, -0.5, v84, v15
	v_sub_f16_e32 v49, v49, v50
	v_add_f16_e32 v58, v78, v51
	v_add_f16_e32 v78, v47, v54
	v_sub_f16_e32 v50, v47, v48
	v_sub_f16_e32 v47, v48, v47
	;; [unrolled: 1-line block ×3, first 2 shown]
	v_fmac_f16_e32 v77, 0x34f2, v75
	v_fmac_f16_e32 v72, 0xb8b4, v80
	;; [unrolled: 1-line block ×4, first 2 shown]
	v_fmamk_f16 v75, v55, 0x3b9c, v82
	v_sub_f16_e32 v80, v54, v51
	v_fmac_f16_e32 v15, -0.5, v78
	v_fmac_f16_e32 v82, 0xbb9c, v55
	v_add_f16_e32 v47, v47, v48
	v_add_f16_e32 v48, v7, v39
	v_fmac_f16_e32 v75, 0x38b4, v49
	v_add_f16_e32 v50, v50, v80
	v_fmamk_f16 v78, v49, 0xbb9c, v15
	v_add_f16_e32 v51, v36, v38
	v_fmac_f16_e32 v82, 0xb8b4, v49
	v_fmac_f16_e32 v15, 0x3b9c, v49
	v_add_f16_e32 v48, v48, v36
	v_add_f16_e32 v83, v39, v42
	v_lshrrev_b32_e32 v11, 16, v7
	v_fmac_f16_e32 v75, 0x34f2, v50
	v_fmac_f16_e32 v78, 0x38b4, v55
	v_fma_f16 v51, -0.5, v51, v7
	v_fmac_f16_e32 v82, 0x34f2, v50
	v_sub_f16_e32 v50, v35, v37
	v_fmac_f16_e32 v15, 0xb8b4, v55
	v_add_f16_e32 v48, v48, v38
	v_fmac_f16_e32 v7, -0.5, v83
	v_fmac_f16_e32 v72, 0x34f2, v81
	v_fmac_f16_e32 v6, 0x34f2, v81
	v_add_f16_e32 v58, v58, v54
	v_sub_f16_e32 v54, v31, v41
	v_fmac_f16_e32 v78, 0x34f2, v47
	v_sub_f16_e32 v80, v39, v36
	v_sub_f16_e32 v81, v42, v38
	v_fmac_f16_e32 v15, 0x34f2, v47
	v_add_f16_e32 v47, v48, v42
	v_fmamk_f16 v48, v50, 0x3b9c, v7
	v_fmac_f16_e32 v7, 0xbb9c, v50
	v_fmamk_f16 v49, v54, 0xbb9c, v51
	v_add_f16_e32 v55, v80, v81
	v_fmac_f16_e32 v51, 0x3b9c, v54
	v_sub_f16_e32 v80, v36, v39
	v_sub_f16_e32 v81, v38, v42
	v_add_f16_e32 v83, v11, v31
	v_add_f16_e32 v84, v35, v37
	v_fmac_f16_e32 v48, 0xb8b4, v54
	v_fmac_f16_e32 v7, 0x38b4, v54
	v_add_f16_e32 v54, v31, v41
	v_fmac_f16_e32 v49, 0xb8b4, v50
	v_fmac_f16_e32 v51, 0x38b4, v50
	v_add_f16_e32 v80, v80, v81
	v_add_f16_e32 v50, v83, v35
	v_fma_f16 v81, -0.5, v84, v11
	v_sub_f16_e32 v39, v39, v42
	v_sub_f16_e32 v36, v36, v38
	;; [unrolled: 1-line block ×3, first 2 shown]
	v_fmac_f16_e32 v11, -0.5, v54
	v_sub_f16_e32 v31, v35, v31
	v_sub_f16_e32 v35, v37, v41
	v_fmac_f16_e32 v49, 0x34f2, v55
	v_fmac_f16_e32 v51, 0x34f2, v55
	v_add_f16_e32 v42, v50, v37
	v_fmamk_f16 v50, v39, 0x3b9c, v81
	v_sub_f16_e32 v55, v41, v37
	v_fmac_f16_e32 v81, 0xbb9c, v39
	v_fmamk_f16 v54, v36, 0xbb9c, v11
	v_add_f16_e32 v31, v31, v35
	v_add_f16_e32 v35, v0, v22
	v_fmac_f16_e32 v11, 0x3b9c, v36
	v_fmac_f16_e32 v50, 0x38b4, v36
	v_add_f16_e32 v38, v38, v55
	v_add_f16_e32 v37, v20, v24
	v_fmac_f16_e32 v81, 0xb8b4, v36
	v_fmac_f16_e32 v54, 0x38b4, v39
	v_add_f16_e32 v35, v35, v20
	v_fmac_f16_e32 v11, 0xb8b4, v39
	v_add_f16_e32 v39, v22, v29
	v_lshrrev_b32_e32 v8, 16, v0
	v_fmac_f16_e32 v48, 0x34f2, v80
	v_fmac_f16_e32 v7, 0x34f2, v80
	;; [unrolled: 1-line block ×3, first 2 shown]
	v_fma_f16 v37, -0.5, v37, v0
	v_fmac_f16_e32 v81, 0x34f2, v38
	v_sub_f16_e32 v38, v19, v23
	v_sub_f16_e32 v55, v22, v20
	;; [unrolled: 1-line block ×3, first 2 shown]
	v_add_f16_e32 v35, v35, v24
	v_fmac_f16_e32 v0, -0.5, v39
	v_add_f16_e32 v42, v42, v41
	v_sub_f16_e32 v41, v18, v27
	v_fmac_f16_e32 v54, 0x34f2, v31
	v_add_f16_e32 v55, v55, v80
	v_fmac_f16_e32 v11, 0x34f2, v31
	v_add_f16_e32 v31, v35, v29
	v_fmamk_f16 v35, v38, 0x3b9c, v0
	v_sub_f16_e32 v39, v20, v22
	v_sub_f16_e32 v80, v24, v29
	v_fmac_f16_e32 v0, 0xbb9c, v38
	v_fmamk_f16 v36, v41, 0xbb9c, v37
	v_fmac_f16_e32 v35, 0xb8b4, v41
	v_fmac_f16_e32 v37, 0x3b9c, v41
	v_add_f16_e32 v39, v39, v80
	v_fmac_f16_e32 v0, 0x38b4, v41
	v_add_f16_e32 v83, v19, v23
	v_fmac_f16_e32 v36, 0xb8b4, v38
	v_fmac_f16_e32 v37, 0x38b4, v38
	;; [unrolled: 1-line block ×4, first 2 shown]
	v_add_f16_e32 v39, v18, v27
	v_add_f16_e32 v38, v8, v18
	v_fma_f16 v41, -0.5, v83, v8
	v_sub_f16_e32 v20, v20, v24
	v_sub_f16_e32 v22, v22, v29
	v_fmac_f16_e32 v8, -0.5, v39
	v_add_f16_e32 v38, v38, v19
	v_add_f16_e32 v52, v52, v114
	v_sub_f16_e32 v24, v18, v19
	v_sub_f16_e32 v18, v19, v18
	v_fmamk_f16 v39, v20, 0xbb9c, v8
	v_sub_f16_e32 v19, v23, v27
	v_fmac_f16_e32 v8, 0x3b9c, v20
	v_add_f16_e32 v29, v38, v23
	v_fmamk_f16 v38, v22, 0x3b9c, v41
	v_fmac_f16_e32 v41, 0xbb9c, v22
	v_add_f16_e32 v52, v52, v115
	v_fmac_f16_e32 v39, 0x38b4, v22
	v_add_f16_e32 v18, v18, v19
	;; [unrolled: 2-line block ×3, first 2 shown]
	v_pack_b32_f16 v19, v26, v32
	v_fmac_f16_e32 v38, 0x38b4, v20
	v_fmac_f16_e32 v41, 0xb8b4, v20
	v_pack_b32_f16 v20, v21, v30
	v_pack_b32_f16 v2, v2, v16
	;; [unrolled: 1-line block ×5, first 2 shown]
	v_fmac_f16_e32 v36, 0x34f2, v55
	v_fmac_f16_e32 v37, 0x34f2, v55
	v_sub_f16_e32 v55, v27, v23
	v_fmac_f16_e32 v39, 0x34f2, v18
	v_fmac_f16_e32 v8, 0x34f2, v18
	v_pack_b32_f16 v18, v40, v46
	v_add_f16_e32 v59, v59, v119
	v_add_f16_e32 v65, v65, v121
	;; [unrolled: 1-line block ×3, first 2 shown]
	ds_write_b32 v129, v19
	ds_write_b32 v169, v20 offset:476
	ds_write_b32 v169, v21 offset:952
	v_pack_b32_f16 v19, v43, v53
	ds_write_b32 v169, v2 offset:1428
	ds_write_b32 v169, v1 offset:1904
	ds_write_b32 v129, v16 offset:68
	ds_write_b32 v169, v18 offset:544
	ds_write_b32 v169, v19 offset:1020
	v_pack_b32_f16 v1, v3, v9
	v_pack_b32_f16 v2, v34, v45
	;; [unrolled: 1-line block ×4, first 2 shown]
	v_add_f16_e32 v24, v24, v55
	v_pack_b32_f16 v4, v4, v17
	v_pack_b32_f16 v17, v56, v61
	v_add_nc_u32_e32 v18, 0x400, v227
	v_pack_b32_f16 v3, v59, v64
	v_pack_b32_f16 v19, v65, v67
	ds_write_b32 v169, v1 offset:1496
	ds_write_b32 v169, v2 offset:1972
	ds_write2_b32 v227, v9, v16 offset0:119 offset1:238
	ds_write2_b32 v18, v4, v17 offset0:101 offset1:220
	;; [unrolled: 1-line block ×3, first 2 shown]
	v_pack_b32_f16 v1, v68, v70
	v_pack_b32_f16 v2, v69, v73
	;; [unrolled: 1-line block ×4, first 2 shown]
	v_add_nc_u32_e32 v5, 0x400, v226
	v_add_f16_e32 v29, v29, v27
	v_pack_b32_f16 v12, v77, v75
	v_pack_b32_f16 v16, v72, v78
	v_fmac_f16_e32 v38, 0x34f2, v24
	v_pack_b32_f16 v6, v6, v15
	v_pack_b32_f16 v15, v79, v82
	v_add_nc_u32_e32 v17, 0x400, v225
	v_fmac_f16_e32 v41, 0x34f2, v24
	v_pack_b32_f16 v9, v62, v58
	v_pack_b32_f16 v18, v47, v42
	ds_write2_b32 v226, v1, v2 offset0:119 offset1:238
	ds_write2_b32 v5, v3, v4 offset0:101 offset1:220
	ds_write2_b32 v225, v12, v16 offset0:119 offset1:238
	ds_write2_b32 v17, v6, v15 offset0:101 offset1:220
	ds_write2_b32 v129, v9, v18 offset0:68 offset1:85
	v_pack_b32_f16 v1, v49, v50
	v_pack_b32_f16 v2, v48, v54
	;; [unrolled: 1-line block ×4, first 2 shown]
	v_add_nc_u32_e32 v5, 0x400, v224
	v_pack_b32_f16 v6, v31, v29
	v_pack_b32_f16 v7, v36, v38
	;; [unrolled: 1-line block ×5, first 2 shown]
	v_add_nc_u32_e32 v11, 0x400, v191
	ds_write2_b32 v224, v1, v2 offset0:119 offset1:238
	ds_write2_b32 v5, v3, v4 offset0:101 offset1:220
	ds_write_b32 v129, v6 offset:408
	ds_write2_b32 v191, v7, v9 offset0:119 offset1:238
	ds_write2_b32 v11, v0, v8 offset0:101 offset1:220
	s_waitcnt lgkmcnt(0)
	s_barrier
	buffer_gl0_inv
	ds_read2_b32 v[8:9], v129 offset1:17
	s_mov_b32 s3, 0x3f5b8940
	s_waitcnt lgkmcnt(0)
	v_lshrrev_b32_e32 v2, 16, v8
	v_mul_f16_sdwa v3, v255, v8 dst_sel:DWORD dst_unused:UNUSED_PAD src0_sel:WORD_1 src1_sel:DWORD
	v_mul_f16_sdwa v0, v255, v2 dst_sel:DWORD dst_unused:UNUSED_PAD src0_sel:WORD_1 src1_sel:DWORD
	v_fma_f16 v2, v255, v2, -v3
	v_fmac_f16_e32 v0, v255, v8
	v_cvt_f32_f16_e32 v2, v2
	v_cvt_f32_f16_e32 v0, v0
	v_cvt_f64_f32_e32 v[2:3], v2
	v_cvt_f64_f32_e32 v[0:1], v0
	v_mul_f64 v[5:6], v[2:3], s[2:3]
	ds_read2_b32 v[3:4], v129 offset0:68 offset1:85
	v_mul_f64 v[0:1], v[0:1], s[2:3]
	s_waitcnt lgkmcnt(0)
	v_lshrrev_b32_e32 v17, 16, v4
	v_and_or_b32 v5, 0x1ff, v6, v5
	v_lshrrev_b32_e32 v11, 8, v6
	v_bfe_u32 v16, v6, 20, 11
	v_lshrrev_b32_e32 v6, 16, v6
	v_and_or_b32 v0, 0x1ff, v1, v0
	v_lshrrev_b32_e32 v2, 8, v1
	v_bfe_u32 v7, v1, 20, 11
	v_add_nc_u32_e32 v22, 0xfffffc10, v16
	v_cmp_ne_u32_e32 vcc_lo, 0, v0
	v_add_nc_u32_e32 v20, 0xfffffc10, v7
	v_cmp_gt_i32_e64 s1, 1, v22
	v_cndmask_b32_e64 v0, 0, 1, vcc_lo
	v_cmp_ne_u32_e32 vcc_lo, 0, v5
	v_and_or_b32 v2, 0xffe, v2, v0
	v_sub_nc_u32_e32 v0, 0x3f1, v7
	v_cndmask_b32_e64 v5, 0, 1, vcc_lo
	v_mul_f16_sdwa v7, v254, v17 dst_sel:DWORD dst_unused:UNUSED_PAD src0_sel:WORD_1 src1_sel:DWORD
	v_or_b32_e32 v8, 0x1000, v2
	v_med3_i32 v0, v0, 0, 13
	v_and_or_b32 v19, 0xffe, v11, v5
	v_sub_nc_u32_e32 v5, 0x3f1, v16
	v_fmac_f16_e32 v7, v254, v4
	v_mad_u64_u32 v[11:12], null, s6, v164, 0
	v_lshrrev_b32_e32 v15, v0, v8
	v_or_b32_e32 v18, 0x1000, v19
	v_med3_i32 v5, v5, 0, 13
	v_cvt_f32_f16_e32 v7, v7
	v_mul_f16_sdwa v16, v254, v4 dst_sel:DWORD dst_unused:UNUSED_PAD src0_sel:WORD_1 src1_sel:DWORD
	v_lshlrev_b32_e32 v0, v0, v15
	s_mul_hi_u32 s6, s4, 0x154
	v_cmp_ne_u32_e32 vcc_lo, v0, v8
	v_lshl_or_b32 v8, v20, 12, v2
	v_cndmask_b32_e64 v0, 0, 1, vcc_lo
	v_cmp_gt_i32_e32 vcc_lo, 1, v20
	v_or_b32_e32 v0, v15, v0
	v_lshrrev_b32_e32 v15, v5, v18
	v_cndmask_b32_e32 v21, v8, v0, vcc_lo
	v_lshlrev_b32_e32 v5, v5, v15
	v_cvt_f64_f32_e32 v[7:8], v7
	v_mov_b32_e32 v0, v12
	v_and_b32_e32 v12, 7, v21
	v_cmp_ne_u32_e32 vcc_lo, v5, v18
	v_mad_u64_u32 v[4:5], null, s7, v164, v[0:1]
	v_cmp_eq_u32_e64 s0, 3, v12
	v_cndmask_b32_e64 v18, 0, 1, vcc_lo
	v_cmp_lt_i32_e32 vcc_lo, 5, v12
	v_lshrrev_b32_e32 v12, 2, v21
	v_lshl_or_b32 v5, v22, 12, v19
	s_mul_i32 s7, s4, 0x154
	v_or_b32_e32 v0, v15, v18
	v_fma_f16 v15, v254, v17, -v16
	s_or_b32 vcc_lo, s0, vcc_lo
	v_add_co_ci_u32_e32 v12, vcc_lo, 0, v12, vcc_lo
	v_cndmask_b32_e64 v0, v5, v0, s1
	v_cvt_f32_f16_e32 v5, v15
	v_cmp_ne_u32_e32 vcc_lo, 0, v2
	v_mul_f64 v[17:18], v[7:8], s[2:3]
	v_cmp_eq_u32_e64 s1, 0x40f, v20
	v_cvt_f64_f32_e32 v[15:16], v5
	v_cndmask_b32_e64 v2, 0, 1, vcc_lo
	v_and_b32_e32 v5, 7, v0
	v_cmp_gt_i32_e32 vcc_lo, 31, v20
	v_lshrrev_b32_e32 v0, 2, v0
	v_lshl_or_b32 v2, v2, 9, 0x7c00
	v_cmp_eq_u32_e64 s0, 3, v5
	v_cndmask_b32_e32 v7, 0x7c00, v12, vcc_lo
	v_cmp_lt_i32_e32 vcc_lo, 5, v5
	v_lshrrev_b32_e32 v5, 16, v1
	v_cndmask_b32_e64 v2, v7, v2, s1
	s_or_b32 vcc_lo, s0, vcc_lo
	v_add_co_ci_u32_e32 v7, vcc_lo, 0, v0, vcc_lo
	v_cmp_ne_u32_e32 vcc_lo, 0, v19
	v_and_or_b32 v5, 0x8000, v5, v2
	v_and_or_b32 v2, 0x1ff, v18, v17
	v_mad_u64_u32 v[0:1], null, s4, v163, 0
	v_cndmask_b32_e64 v8, 0, 1, vcc_lo
	v_cmp_gt_i32_e32 vcc_lo, 31, v22
	v_mul_f64 v[19:20], v[15:16], s[2:3]
	v_lshrrev_b32_e32 v16, 8, v18
	v_bfe_u32 v17, v18, 20, 11
	v_lshl_or_b32 v8, v8, 9, 0x7c00
	v_cndmask_b32_e32 v7, 0x7c00, v7, vcc_lo
	v_cmp_eq_u32_e32 vcc_lo, 0x40f, v22
	v_and_b32_e32 v5, 0xffff, v5
	v_cndmask_b32_e32 v15, v7, v8, vcc_lo
	ds_read2_b32 v[7:8], v129 offset0:170 offset1:187
	v_cmp_ne_u32_e32 vcc_lo, 0, v2
	v_mad_u64_u32 v[1:2], null, s5, v163, v[1:2]
	v_cndmask_b32_e64 v12, 0, 1, vcc_lo
	v_lshlrev_b64 v[0:1], 2, v[0:1]
	v_and_or_b32 v2, 0xffe, v16, v12
	v_sub_nc_u32_e32 v16, 0x3f1, v17
	v_mov_b32_e32 v12, v4
	v_and_or_b32 v4, 0x8000, v6, v15
	v_bfe_u32 v24, v20, 20, 11
	v_or_b32_e32 v6, 0x1000, v2
	v_med3_i32 v15, v16, 0, 13
	v_and_or_b32 v16, 0x1ff, v20, v19
	v_lshrrev_b32_e32 v22, 8, v20
	s_waitcnt lgkmcnt(0)
	v_lshrrev_b32_e32 v23, 16, v7
	v_lshl_or_b32 v19, v4, 16, v5
	v_lshrrev_b32_e32 v21, v15, v6
	v_cmp_ne_u32_e32 vcc_lo, 0, v16
	v_lshlrev_b64 v[4:5], 2, v[11:12]
	v_mul_f16_sdwa v25, v253, v23 dst_sel:DWORD dst_unused:UNUSED_PAD src0_sel:WORD_1 src1_sel:DWORD
	v_sub_nc_u32_e32 v11, 0x3f1, v24
	v_lshlrev_b32_e32 v15, v15, v21
	v_cndmask_b32_e64 v16, 0, 1, vcc_lo
	v_add_nc_u32_e32 v17, 0xfffffc10, v17
	v_fmac_f16_e32 v25, v253, v7
	v_cmp_ne_u32_e32 vcc_lo, v15, v6
	v_and_or_b32 v26, 0xffe, v22, v16
	v_med3_i32 v22, v11, 0, 13
	v_cvt_f32_f16_e32 v11, v25
	v_cndmask_b32_e64 v6, 0, 1, vcc_lo
	v_or_b32_e32 v27, 0x1000, v26
	v_add_co_u32 v15, vcc_lo, s8, v4
	v_cvt_f64_f32_e32 v[11:12], v11
	v_add_co_ci_u32_e32 v16, vcc_lo, s9, v5, vcc_lo
	v_lshrrev_b32_e32 v25, v22, v27
	v_or_b32_e32 v6, v21, v6
	v_lshl_or_b32 v21, v17, 12, v2
	v_cmp_gt_i32_e32 vcc_lo, 1, v17
	s_mul_i32 s9, s4, 0xfffff84c
	v_lshlrev_b32_e32 v5, v22, v25
	v_cndmask_b32_e32 v4, v21, v6, vcc_lo
	v_add_co_u32 v21, vcc_lo, v15, v0
	v_mul_f16_sdwa v0, v253, v7 dst_sel:DWORD dst_unused:UNUSED_PAD src0_sel:WORD_1 src1_sel:DWORD
	v_add_co_ci_u32_e32 v22, vcc_lo, v16, v1, vcc_lo
	v_cmp_ne_u32_e32 vcc_lo, v5, v27
	v_and_b32_e32 v1, 7, v4
	v_fma_f16 v0, v253, v23, -v0
	v_add_nc_u32_e32 v7, 0xfffffc10, v24
	v_lshrrev_b32_e32 v4, 2, v4
	v_cndmask_b32_e64 v5, 0, 1, vcc_lo
	v_cmp_lt_i32_e32 vcc_lo, 5, v1
	v_cmp_eq_u32_e64 s0, 3, v1
	v_cvt_f32_f16_e32 v0, v0
	v_lshl_or_b32 v23, v7, 12, v26
	v_or_b32_e32 v1, v25, v5
	v_mul_f64 v[5:6], v[11:12], s[2:3]
	s_or_b32 vcc_lo, s0, vcc_lo
	v_cvt_f64_f32_e32 v[11:12], v0
	v_cmp_gt_i32_e64 s1, 1, v7
	v_add_co_ci_u32_e32 v4, vcc_lo, 0, v4, vcc_lo
	v_cmp_ne_u32_e32 vcc_lo, 0, v2
	global_store_dword v[21:22], v19, off
	v_cndmask_b32_e64 v23, v23, v1, s1
	ds_read2_b32 v[0:1], v129 offset0:238 offset1:255
	v_cmp_eq_u32_e64 s1, 0x40f, v17
	v_cndmask_b32_e64 v2, 0, 1, vcc_lo
	v_cmp_gt_i32_e32 vcc_lo, 31, v17
	v_and_b32_e32 v24, 7, v23
	v_lshrrev_b32_e32 v17, 16, v18
	v_lshl_or_b32 v2, v2, 9, 0x7c00
	v_cndmask_b32_e32 v4, 0x7c00, v4, vcc_lo
	v_cmp_lt_i32_e32 vcc_lo, 5, v24
	v_cmp_eq_u32_e64 s0, 3, v24
	v_cndmask_b32_e64 v2, v4, v2, s1
	v_lshrrev_b32_e32 v4, 2, v23
	v_and_or_b32 v5, 0x1ff, v6, v5
	s_or_b32 vcc_lo, s0, vcc_lo
	v_mul_f64 v[11:12], v[11:12], s[2:3]
	v_lshrrev_b32_e32 v18, 8, v6
	v_add_co_ci_u32_e32 v4, vcc_lo, 0, v4, vcc_lo
	v_cmp_ne_u32_e32 vcc_lo, 0, v5
	v_bfe_u32 v19, v6, 20, 11
	s_waitcnt lgkmcnt(0)
	v_lshrrev_b32_e32 v23, 16, v1
	v_and_or_b32 v2, 0x8000, v17, v2
	s_mul_i32 s0, s5, 0x154
	v_cndmask_b32_e64 v5, 0, 1, vcc_lo
	v_cmp_ne_u32_e32 vcc_lo, 0, v26
	s_add_i32 s6, s6, s0
	v_and_b32_e32 v2, 0xffff, v2
	v_and_or_b32 v25, 0xffe, v18, v5
	v_sub_nc_u32_e32 v5, 0x3f1, v19
	v_cndmask_b32_e64 v24, 0, 1, vcc_lo
	v_mul_f16_sdwa v18, v76, v23 dst_sel:DWORD dst_unused:UNUSED_PAD src0_sel:WORD_1 src1_sel:DWORD
	v_cmp_gt_i32_e32 vcc_lo, 31, v7
	v_or_b32_e32 v26, 0x1000, v25
	v_med3_i32 v5, v5, 0, 13
	v_lshl_or_b32 v24, v24, 9, 0x7c00
	v_fmac_f16_e32 v18, v76, v1
	v_cndmask_b32_e32 v4, 0x7c00, v4, vcc_lo
	v_cmp_eq_u32_e32 vcc_lo, 0x40f, v7
	v_lshrrev_b32_e32 v7, 16, v20
	v_lshrrev_b32_e32 v20, v5, v26
	v_and_or_b32 v11, 0x1ff, v12, v11
	v_cvt_f32_f16_e32 v18, v18
	v_cndmask_b32_e32 v4, v4, v24, vcc_lo
	v_bfe_u32 v24, v12, 20, 11
	v_lshlrev_b32_e32 v17, v5, v20
	v_cmp_ne_u32_e32 vcc_lo, 0, v11
	v_add_nc_u32_e32 v19, 0xfffffc10, v19
	v_and_or_b32 v7, 0x8000, v7, v4
	v_cvt_f64_f32_e32 v[4:5], v18
	v_lshrrev_b32_e32 v18, 8, v12
	v_cndmask_b32_e64 v11, 0, 1, vcc_lo
	v_cmp_ne_u32_e32 vcc_lo, v17, v26
	v_lshl_or_b32 v28, v7, 16, v2
	v_mul_f16_sdwa v1, v76, v1 dst_sel:DWORD dst_unused:UNUSED_PAD src0_sel:WORD_1 src1_sel:DWORD
	v_lshrrev_b32_e32 v12, 16, v12
	v_and_or_b32 v11, 0xffe, v18, v11
	v_cndmask_b32_e64 v17, 0, 1, vcc_lo
	v_sub_nc_u32_e32 v18, 0x3f1, v24
	v_cmp_gt_i32_e32 vcc_lo, 1, v19
	v_fma_f16 v1, v76, v23, -v1
	v_or_b32_e32 v26, 0x1000, v11
	v_or_b32_e32 v17, v20, v17
	v_lshl_or_b32 v20, v19, 12, v25
	v_med3_i32 v27, v18, 0, 13
	v_cvt_f32_f16_e32 v1, v1
	v_cndmask_b32_e32 v20, v20, v17, vcc_lo
	v_lshrrev_b32_e32 v2, v27, v26
	v_mul_f64 v[17:18], v[4:5], s[2:3]
	v_and_b32_e32 v7, 7, v20
	v_lshlrev_b32_e32 v4, v27, v2
	v_lshrrev_b32_e32 v5, 2, v20
	v_add_nc_u32_e32 v20, 0xfffffc10, v24
	v_cmp_lt_i32_e32 vcc_lo, 5, v7
	v_cmp_eq_u32_e64 s0, 3, v7
	v_cmp_ne_u32_e64 s1, v4, v26
	s_or_b32 vcc_lo, s0, vcc_lo
	v_cndmask_b32_e64 v4, 0, 1, s1
	v_add_co_ci_u32_e32 v7, vcc_lo, 0, v5, vcc_lo
	v_cmp_ne_u32_e32 vcc_lo, 0, v25
	v_lshl_or_b32 v5, v20, 12, v11
	v_or_b32_e32 v4, v2, v4
	v_cvt_f64_f32_e32 v[1:2], v1
	v_cndmask_b32_e64 v23, 0, 1, vcc_lo
	v_cmp_gt_i32_e32 vcc_lo, 1, v20
	v_and_or_b32 v17, 0x1ff, v18, v17
	v_lshrrev_b32_e32 v26, 8, v18
	v_bfe_u32 v27, v18, 20, 11
	v_lshl_or_b32 v23, v23, 9, 0x7c00
	v_cndmask_b32_e32 v24, v5, v4, vcc_lo
	v_cmp_gt_i32_e32 vcc_lo, 31, v19
	ds_read2_b32 v[4:5], v13 offset0:84 offset1:101
	v_and_b32_e32 v25, 7, v24
	v_cndmask_b32_e32 v7, 0x7c00, v7, vcc_lo
	v_cmp_ne_u32_e32 vcc_lo, 0, v17
	v_cmp_eq_u32_e64 s0, 3, v25
	v_cndmask_b32_e64 v17, 0, 1, vcc_lo
	v_cmp_eq_u32_e32 vcc_lo, 0x40f, v19
	v_and_or_b32 v17, 0xffe, v26, v17
	v_cndmask_b32_e32 v19, v7, v23, vcc_lo
	v_cmp_lt_i32_e32 vcc_lo, 5, v25
	v_lshrrev_b32_e32 v23, 16, v6
	v_mul_f64 v[6:7], v[1:2], s[2:3]
	v_lshrrev_b32_e32 v1, 2, v24
	v_sub_nc_u32_e32 v26, 0x3f1, v27
	s_or_b32 vcc_lo, s0, vcc_lo
	v_or_b32_e32 v2, 0x1000, v17
	s_waitcnt lgkmcnt(0)
	v_lshrrev_b32_e32 v25, 16, v4
	v_add_co_ci_u32_e32 v1, vcc_lo, 0, v1, vcc_lo
	v_med3_i32 v24, v26, 0, 13
	v_cmp_ne_u32_e32 vcc_lo, 0, v11
	v_mul_f16_sdwa v29, v162, v25 dst_sel:DWORD dst_unused:UNUSED_PAD src0_sel:WORD_1 src1_sel:DWORD
	v_and_or_b32 v19, 0x8000, v23, v19
	v_add_nc_u32_e32 v27, 0xfffffc10, v27
	v_lshrrev_b32_e32 v26, v24, v2
	v_cndmask_b32_e64 v11, 0, 1, vcc_lo
	v_cmp_gt_i32_e32 vcc_lo, 31, v20
	v_fmac_f16_e32 v29, v162, v4
	v_and_b32_e32 v19, 0xffff, v19
	v_lshlrev_b32_e32 v23, v24, v26
	v_lshl_or_b32 v11, v11, 9, 0x7c00
	v_cndmask_b32_e32 v1, 0x7c00, v1, vcc_lo
	v_cmp_eq_u32_e32 vcc_lo, 0x40f, v20
	v_and_or_b32 v6, 0x1ff, v7, v6
	v_bfe_u32 v24, v7, 20, 11
	v_cndmask_b32_e32 v11, v1, v11, vcc_lo
	v_cmp_ne_u32_e32 vcc_lo, v23, v2
	v_cvt_f32_f16_e32 v1, v29
	v_lshrrev_b32_e32 v23, 8, v7
	v_and_or_b32 v29, 0x8000, v12, v11
	v_cndmask_b32_e64 v20, 0, 1, vcc_lo
	v_cmp_ne_u32_e32 vcc_lo, 0, v6
	v_cvt_f64_f32_e32 v[1:2], v1
	v_lshl_or_b32 v12, v27, 12, v17
	v_lshl_or_b32 v29, v29, 16, v19
	v_or_b32_e32 v11, v26, v20
	v_cndmask_b32_e64 v6, 0, 1, vcc_lo
	v_sub_nc_u32_e32 v20, 0x3f1, v24
	v_cmp_gt_i32_e32 vcc_lo, 1, v27
	v_and_or_b32 v6, 0xffe, v23, v6
	v_med3_i32 v30, v20, 0, 13
	v_cndmask_b32_e32 v23, v12, v11, vcc_lo
	v_add_co_u32 v11, vcc_lo, v21, s7
	v_or_b32_e32 v26, 0x1000, v6
	v_add_co_ci_u32_e32 v12, vcc_lo, s6, v22, vcc_lo
	v_and_b32_e32 v31, 7, v23
	v_add_co_u32 v21, vcc_lo, v11, s7
	v_lshrrev_b32_e32 v32, v30, v26
	v_add_co_ci_u32_e32 v22, vcc_lo, s6, v12, vcc_lo
	v_mul_f64 v[19:20], v[1:2], s[2:3]
	v_mul_f16_sdwa v1, v162, v4 dst_sel:DWORD dst_unused:UNUSED_PAD src0_sel:WORD_1 src1_sel:DWORD
	v_lshlrev_b32_e32 v2, v30, v32
	v_cmp_lt_i32_e32 vcc_lo, 5, v31
	v_cmp_eq_u32_e64 s0, 3, v31
	v_lshrrev_b32_e32 v4, 2, v23
	v_fma_f16 v1, v162, v25, -v1
	v_cmp_ne_u32_e64 s1, v2, v26
	v_add_nc_u32_e32 v25, 0xfffffc10, v24
	s_or_b32 vcc_lo, s0, vcc_lo
	v_cvt_f32_f16_e32 v1, v1
	v_add_co_ci_u32_e32 v4, vcc_lo, 0, v4, vcc_lo
	v_cndmask_b32_e64 v2, 0, 1, s1
	v_cmp_ne_u32_e32 vcc_lo, 0, v17
	v_cvt_f64_f32_e32 v[23:24], v1
	v_lshl_or_b32 v30, v25, 12, v6
	v_or_b32_e32 v26, v32, v2
	v_cndmask_b32_e64 v17, 0, 1, vcc_lo
	v_cmp_gt_i32_e32 vcc_lo, 1, v25
	v_and_or_b32 v19, 0x1ff, v20, v19
	ds_read2_b32 v[1:2], v13 offset0:152 offset1:169
	v_lshrrev_b32_e32 v31, 8, v20
	v_lshl_or_b32 v17, v17, 9, 0x7c00
	v_cndmask_b32_e32 v26, v30, v26, vcc_lo
	v_cmp_gt_i32_e32 vcc_lo, 31, v27
	v_bfe_u32 v32, v20, 20, 11
	global_store_dword v[11:12], v28, off
	global_store_dword v[21:22], v29, off
	v_lshrrev_b32_e32 v20, 16, v20
	v_and_b32_e32 v30, 7, v26
	v_cndmask_b32_e32 v4, 0x7c00, v4, vcc_lo
	v_cmp_ne_u32_e32 vcc_lo, 0, v19
	v_cmp_eq_u32_e64 s0, 3, v30
	v_cndmask_b32_e64 v19, 0, 1, vcc_lo
	v_cmp_eq_u32_e32 vcc_lo, 0x40f, v27
	v_lshrrev_b32_e32 v27, 16, v18
	v_and_or_b32 v19, 0xffe, v31, v19
	v_cndmask_b32_e32 v4, v4, v17, vcc_lo
	v_cmp_lt_i32_e32 vcc_lo, 5, v30
	v_mul_f64 v[17:18], v[23:24], s[2:3]
	v_lshrrev_b32_e32 v24, 2, v26
	v_sub_nc_u32_e32 v31, 0x3f1, v32
	v_or_b32_e32 v26, 0x1000, v19
	s_or_b32 vcc_lo, s0, vcc_lo
	s_waitcnt lgkmcnt(0)
	v_lshrrev_b32_e32 v23, 16, v2
	v_add_co_ci_u32_e32 v24, vcc_lo, 0, v24, vcc_lo
	v_med3_i32 v30, v31, 0, 13
	v_cmp_ne_u32_e32 vcc_lo, 0, v6
	v_mul_f16_sdwa v31, v161, v23 dst_sel:DWORD dst_unused:UNUSED_PAD src0_sel:WORD_1 src1_sel:DWORD
	v_and_or_b32 v4, 0x8000, v27, v4
	v_lshrrev_b32_e32 v33, v30, v26
	v_cndmask_b32_e64 v6, 0, 1, vcc_lo
	v_cmp_gt_i32_e32 vcc_lo, 31, v25
	v_fmac_f16_e32 v31, v161, v2
	v_and_b32_e32 v4, 0xffff, v4
	v_lshlrev_b32_e32 v27, v30, v33
	v_lshl_or_b32 v6, v6, 9, 0x7c00
	v_cndmask_b32_e32 v24, 0x7c00, v24, vcc_lo
	v_cmp_eq_u32_e32 vcc_lo, 0x40f, v25
	v_and_or_b32 v17, 0x1ff, v18, v17
	v_cvt_f32_f16_e32 v30, v31
	v_lshrrev_b32_e32 v25, 16, v7
	v_bfe_u32 v31, v18, 20, 11
	v_cndmask_b32_e32 v24, v24, v6, vcc_lo
	v_cmp_ne_u32_e32 vcc_lo, v27, v26
	v_cvt_f64_f32_e32 v[6:7], v30
	v_add_nc_u32_e32 v27, 0xfffffc10, v32
	v_lshrrev_b32_e32 v30, 8, v18
	v_and_or_b32 v24, 0x8000, v25, v24
	v_cndmask_b32_e64 v26, 0, 1, vcc_lo
	v_cmp_ne_u32_e32 vcc_lo, 0, v17
	v_mul_f16_sdwa v2, v161, v2 dst_sel:DWORD dst_unused:UNUSED_PAD src0_sel:WORD_1 src1_sel:DWORD
	v_lshl_or_b32 v4, v24, 16, v4
	v_or_b32_e32 v25, v33, v26
	v_cndmask_b32_e64 v17, 0, 1, vcc_lo
	v_lshl_or_b32 v26, v27, 12, v19
	v_cmp_gt_i32_e32 vcc_lo, 1, v27
	v_fma_f16 v2, v161, v23, -v2
	v_and_or_b32 v17, 0xffe, v30, v17
	v_sub_nc_u32_e32 v30, 0x3f1, v31
	v_cndmask_b32_e32 v25, v26, v25, vcc_lo
	v_add_co_u32 v21, vcc_lo, v21, s7
	v_or_b32_e32 v26, 0x1000, v17
	v_med3_i32 v30, v30, 0, 13
	v_and_b32_e32 v24, 7, v25
	v_mul_f64 v[11:12], v[6:7], s[2:3]
	v_add_co_ci_u32_e32 v22, vcc_lo, s6, v22, vcc_lo
	v_lshrrev_b32_e32 v28, v30, v26
	v_cmp_lt_i32_e32 vcc_lo, 5, v24
	v_cmp_eq_u32_e64 s0, 3, v24
	v_lshrrev_b32_e32 v7, 2, v25
	v_cvt_f32_f16_e32 v2, v2
	v_lshlrev_b32_e32 v6, v30, v28
	v_add_nc_u32_e32 v25, 0xfffffc10, v31
	s_or_b32 vcc_lo, s0, vcc_lo
	global_store_dword v[21:22], v4, off
	v_cvt_f64_f32_e32 v[23:24], v2
	v_cmp_ne_u32_e64 s1, v6, v26
	v_add_co_ci_u32_e32 v26, vcc_lo, 0, v7, vcc_lo
	v_cmp_ne_u32_e32 vcc_lo, 0, v19
	v_lshl_or_b32 v2, v25, 12, v17
	v_cndmask_b32_e64 v6, 0, 1, s1
	v_and_or_b32 v11, 0x1ff, v12, v11
	v_or_b32_e32 v28, v28, v6
	ds_read2_b32 v[6:7], v10 offset0:126 offset1:143
	v_cndmask_b32_e64 v10, 0, 1, vcc_lo
	v_cmp_gt_i32_e32 vcc_lo, 1, v25
	v_bfe_u32 v29, v12, 20, 11
	v_lshl_or_b32 v10, v10, 9, 0x7c00
	v_cndmask_b32_e32 v2, v2, v28, vcc_lo
	v_cmp_gt_i32_e32 vcc_lo, 31, v27
	v_lshrrev_b32_e32 v28, 8, v12
	v_lshrrev_b32_e32 v12, 16, v12
	v_cndmask_b32_e32 v19, 0x7c00, v26, vcc_lo
	v_cmp_ne_u32_e32 vcc_lo, 0, v11
	v_and_b32_e32 v26, 7, v2
	v_lshrrev_b32_e32 v2, 2, v2
	v_cndmask_b32_e64 v11, 0, 1, vcc_lo
	v_cmp_eq_u32_e32 vcc_lo, 0x40f, v27
	v_cmp_eq_u32_e64 s0, 3, v26
	s_waitcnt lgkmcnt(0)
	v_mul_f16_sdwa v4, v160, v6 dst_sel:DWORD dst_unused:UNUSED_PAD src0_sel:WORD_1 src1_sel:DWORD
	v_and_or_b32 v27, 0xffe, v28, v11
	v_cndmask_b32_e32 v19, v19, v10, vcc_lo
	v_cmp_lt_i32_e32 vcc_lo, 5, v26
	v_mul_f64 v[10:11], v[23:24], s[2:3]
	v_sub_nc_u32_e32 v28, 0x3f1, v29
	v_lshrrev_b32_e32 v23, 16, v6
	v_or_b32_e32 v24, 0x1000, v27
	s_or_b32 vcc_lo, s0, vcc_lo
	v_and_or_b32 v19, 0x8000, v20, v19
	v_add_co_ci_u32_e32 v2, vcc_lo, 0, v2, vcc_lo
	v_med3_i32 v26, v28, 0, 13
	v_cmp_ne_u32_e32 vcc_lo, 0, v17
	v_mul_f16_sdwa v28, v160, v23 dst_sel:DWORD dst_unused:UNUSED_PAD src0_sel:WORD_1 src1_sel:DWORD
	v_and_b32_e32 v19, 0xffff, v19
	v_fma_f16 v4, v160, v23, -v4
	v_lshrrev_b32_e32 v30, v26, v24
	v_cndmask_b32_e64 v17, 0, 1, vcc_lo
	v_cmp_gt_i32_e32 vcc_lo, 31, v25
	v_fmac_f16_e32 v28, v160, v6
	v_cvt_f32_f16_e32 v4, v4
	v_lshlrev_b32_e32 v20, v26, v30
	v_lshl_or_b32 v17, v17, 9, 0x7c00
	v_cndmask_b32_e32 v2, 0x7c00, v2, vcc_lo
	v_cmp_eq_u32_e32 vcc_lo, 0x40f, v25
	v_cvt_f32_f16_e32 v26, v28
	v_and_or_b32 v10, 0x1ff, v11, v10
	v_lshrrev_b32_e32 v25, 16, v18
	v_bfe_u32 v28, v11, 20, 11
	v_cndmask_b32_e32 v2, v2, v17, vcc_lo
	v_cmp_ne_u32_e32 vcc_lo, v20, v24
	v_cvt_f64_f32_e32 v[17:18], v26
	v_add_nc_u32_e32 v24, 0xfffffc10, v29
	v_lshrrev_b32_e32 v26, 8, v11
	v_and_or_b32 v2, 0x8000, v25, v2
	v_cndmask_b32_e64 v20, 0, 1, vcc_lo
	v_cmp_ne_u32_e32 vcc_lo, 0, v10
	v_lshl_or_b32 v25, v24, 12, v27
	v_lshl_or_b32 v2, v2, 16, v19
	v_or_b32_e32 v20, v30, v20
	v_cndmask_b32_e64 v10, 0, 1, vcc_lo
	v_cmp_gt_i32_e32 vcc_lo, 1, v24
	v_and_or_b32 v10, 0xffe, v26, v10
	v_sub_nc_u32_e32 v26, 0x3f1, v28
	v_cndmask_b32_e32 v25, v25, v20, vcc_lo
	v_add_co_u32 v19, vcc_lo, v21, s7
	v_or_b32_e32 v29, 0x1000, v10
	v_med3_i32 v26, v26, 0, 13
	v_and_b32_e32 v6, 7, v25
	v_mul_f64 v[17:18], v[17:18], s[2:3]
	v_add_co_ci_u32_e32 v20, vcc_lo, s6, v22, vcc_lo
	v_lshrrev_b32_e32 v30, v26, v29
	v_cmp_lt_i32_e32 vcc_lo, 5, v6
	v_cmp_eq_u32_e64 s0, 3, v6
	v_lshrrev_b32_e32 v6, 2, v25
	v_add_nc_u32_e32 v25, 0xfffffc10, v28
	v_lshlrev_b32_e32 v21, v26, v30
	global_store_dword v[19:20], v2, off
	s_or_b32 vcc_lo, s0, vcc_lo
	v_lshl_or_b32 v26, v25, 12, v10
	v_cmp_ne_u32_e64 s1, v21, v29
	v_cvt_f64_f32_e32 v[21:22], v4
	v_add_co_ci_u32_e32 v4, vcc_lo, 0, v6, vcc_lo
	v_cmp_ne_u32_e32 vcc_lo, 0, v27
	v_cndmask_b32_e64 v23, 0, 1, s1
	v_lshrrev_b32_e32 v27, 16, v9
	v_cndmask_b32_e64 v6, 0, 1, vcc_lo
	v_cmp_gt_i32_e32 vcc_lo, 31, v24
	v_or_b32_e32 v23, v30, v23
	v_and_or_b32 v17, 0x1ff, v18, v17
	v_mul_f16_sdwa v28, v159, v27 dst_sel:DWORD dst_unused:UNUSED_PAD src0_sel:WORD_1 src1_sel:DWORD
	v_lshl_or_b32 v6, v6, 9, 0x7c00
	v_cndmask_b32_e32 v4, 0x7c00, v4, vcc_lo
	v_cmp_gt_i32_e32 vcc_lo, 1, v25
	v_fmac_f16_e32 v28, v159, v9
	v_mul_f16_sdwa v9, v159, v9 dst_sel:DWORD dst_unused:UNUSED_PAD src0_sel:WORD_1 src1_sel:DWORD
	v_cndmask_b32_e32 v23, v26, v23, vcc_lo
	v_cmp_ne_u32_e32 vcc_lo, 0, v17
	v_lshrrev_b32_e32 v26, 8, v18
	v_mul_f64 v[21:22], v[21:22], s[2:3]
	v_fma_f16 v9, v159, v27, -v9
	v_cndmask_b32_e64 v17, 0, 1, vcc_lo
	v_cmp_eq_u32_e32 vcc_lo, 0x40f, v24
	v_and_b32_e32 v24, 7, v23
	v_cvt_f32_f16_e32 v9, v9
	v_and_or_b32 v17, 0xffe, v26, v17
	v_cndmask_b32_e32 v4, v4, v6, vcc_lo
	v_bfe_u32 v6, v18, 20, 11
	v_cmp_lt_i32_e32 vcc_lo, 5, v24
	v_cmp_eq_u32_e64 s0, 3, v24
	v_or_b32_e32 v29, 0x1000, v17
	v_and_or_b32 v4, 0x8000, v12, v4
	v_sub_nc_u32_e32 v26, 0x3f1, v6
	v_lshrrev_b32_e32 v12, 2, v23
	s_or_b32 vcc_lo, s0, vcc_lo
	v_cvt_f32_f16_e32 v23, v28
	v_add_nc_u32_e32 v6, 0xfffffc10, v6
	v_med3_i32 v26, v26, 0, 13
	v_add_co_ci_u32_e32 v12, vcc_lo, 0, v12, vcc_lo
	v_cmp_ne_u32_e32 vcc_lo, 0, v10
	v_and_or_b32 v21, 0x1ff, v22, v21
	v_lshrrev_b32_e32 v30, v26, v29
	v_cvt_f64_f32_e32 v[23:24], v23
	v_lshrrev_b32_e32 v28, 8, v22
	v_cndmask_b32_e64 v10, 0, 1, vcc_lo
	v_cmp_gt_i32_e32 vcc_lo, 31, v25
	v_lshlrev_b32_e32 v26, v26, v30
	v_and_b32_e32 v4, 0xffff, v4
	v_lshl_or_b32 v10, v10, 9, 0x7c00
	v_cndmask_b32_e32 v12, 0x7c00, v12, vcc_lo
	v_cmp_ne_u32_e32 vcc_lo, v26, v29
	v_bfe_u32 v29, v22, 20, 11
	v_cndmask_b32_e64 v26, 0, 1, vcc_lo
	v_cmp_ne_u32_e32 vcc_lo, 0, v21
	v_cndmask_b32_e64 v21, 0, 1, vcc_lo
	v_cmp_eq_u32_e32 vcc_lo, 0x40f, v25
	v_lshl_or_b32 v25, v6, 12, v17
	v_and_or_b32 v21, 0xffe, v28, v21
	v_cndmask_b32_e32 v12, v12, v10, vcc_lo
	v_or_b32_e32 v10, v30, v26
	v_sub_nc_u32_e32 v26, 0x3f1, v29
	v_cmp_gt_i32_e32 vcc_lo, 1, v6
	v_lshrrev_b32_e32 v28, 16, v11
	v_or_b32_e32 v30, 0x1000, v21
	v_med3_i32 v26, v26, 0, 13
	v_cndmask_b32_e32 v25, v25, v10, vcc_lo
	v_mul_f64 v[10:11], v[23:24], s[2:3]
	v_and_or_b32 v12, 0x8000, v28, v12
	v_lshrrev_b32_e32 v28, v26, v30
	v_and_b32_e32 v23, 7, v25
	v_lshl_or_b32 v2, v12, 16, v4
	v_lshrrev_b32_e32 v12, 2, v25
	v_lshlrev_b32_e32 v4, v26, v28
	v_cmp_lt_i32_e32 vcc_lo, 5, v23
	v_cmp_eq_u32_e64 s0, 3, v23
	v_cvt_f64_f32_e32 v[23:24], v9
	v_add_nc_u32_e32 v25, 0xfffffc10, v29
	v_cmp_ne_u32_e64 s1, v4, v30
	s_or_b32 vcc_lo, s0, vcc_lo
	v_add_co_ci_u32_e32 v9, vcc_lo, 0, v12, vcc_lo
	v_cndmask_b32_e64 v4, 0, 1, s1
	v_cmp_ne_u32_e32 vcc_lo, 0, v17
	v_lshl_or_b32 v12, v25, 12, v21
	v_and_or_b32 v10, 0x1ff, v11, v10
	v_bfe_u32 v26, v11, 20, 11
	v_or_b32_e32 v4, v28, v4
	v_cndmask_b32_e64 v17, 0, 1, vcc_lo
	v_cmp_gt_i32_e32 vcc_lo, 1, v25
	v_cmp_eq_u32_e64 s1, 0x40f, v6
	v_sub_nc_u32_e32 v29, 0x3f1, v26
	v_add_nc_u32_e32 v26, 0xfffffc10, v26
	v_lshl_or_b32 v17, v17, 9, 0x7c00
	v_cndmask_b32_e32 v4, v12, v4, vcc_lo
	v_cmp_ne_u32_e32 vcc_lo, 0, v10
	v_lshrrev_b32_e32 v12, 8, v11
	v_mul_f64 v[23:24], v[23:24], s[2:3]
	v_med3_i32 v29, v29, 0, 13
	v_and_b32_e32 v28, 7, v4
	v_cndmask_b32_e64 v10, 0, 1, vcc_lo
	v_cmp_gt_i32_e32 vcc_lo, 31, v6
	v_lshrrev_b32_e32 v4, 2, v4
	v_lshrrev_b32_e32 v11, 16, v11
	v_cmp_eq_u32_e64 s0, 3, v28
	v_and_or_b32 v12, 0xffe, v12, v10
	v_cndmask_b32_e32 v27, 0x7c00, v9, vcc_lo
	v_cmp_lt_i32_e32 vcc_lo, 5, v28
	ds_read2_b32 v[9:10], v129 offset0:102 offset1:119
	v_or_b32_e32 v28, 0x1000, v12
	v_cndmask_b32_e64 v6, v27, v17, s1
	s_or_b32 vcc_lo, s0, vcc_lo
	v_lshrrev_b32_e32 v17, 16, v18
	v_add_co_ci_u32_e32 v4, vcc_lo, 0, v4, vcc_lo
	v_lshrrev_b32_e32 v18, v29, v28
	v_cmp_ne_u32_e32 vcc_lo, 0, v21
	v_and_or_b32 v6, 0x8000, v17, v6
	v_and_or_b32 v23, 0x1ff, v24, v23
	v_bfe_u32 v30, v24, 20, 11
	v_lshlrev_b32_e32 v17, v29, v18
	v_cndmask_b32_e64 v21, 0, 1, vcc_lo
	v_cmp_gt_i32_e32 vcc_lo, 31, v25
	v_lshrrev_b32_e32 v29, 8, v24
	v_and_b32_e32 v6, 0xffff, v6
	v_lshl_or_b32 v21, v21, 9, 0x7c00
	v_cndmask_b32_e32 v4, 0x7c00, v4, vcc_lo
	v_cmp_ne_u32_e32 vcc_lo, v17, v28
	s_waitcnt lgkmcnt(0)
	v_lshrrev_b32_e32 v27, 16, v9
	v_cndmask_b32_e64 v17, 0, 1, vcc_lo
	v_cmp_ne_u32_e32 vcc_lo, 0, v23
	v_mul_f16_sdwa v28, v158, v27 dst_sel:DWORD dst_unused:UNUSED_PAD src0_sel:WORD_1 src1_sel:DWORD
	v_or_b32_e32 v17, v18, v17
	v_cndmask_b32_e64 v23, 0, 1, vcc_lo
	v_fmac_f16_e32 v28, v158, v9
	v_lshl_or_b32 v18, v26, 12, v12
	v_cmp_gt_i32_e32 vcc_lo, 1, v26
	v_mul_f16_sdwa v9, v158, v9 dst_sel:DWORD dst_unused:UNUSED_PAD src0_sel:WORD_1 src1_sel:DWORD
	v_and_or_b32 v23, 0xffe, v29, v23
	v_sub_nc_u32_e32 v29, 0x3f1, v30
	v_cvt_f32_f16_e32 v28, v28
	v_cndmask_b32_e32 v31, v18, v17, vcc_lo
	v_cmp_eq_u32_e32 vcc_lo, 0x40f, v25
	v_or_b32_e32 v32, 0x1000, v23
	v_med3_i32 v29, v29, 0, 13
	v_cvt_f64_f32_e32 v[17:18], v28
	v_add_nc_u32_e32 v28, 0xfffffc10, v30
	v_cndmask_b32_e32 v4, v4, v21, vcc_lo
	v_lshrrev_b32_e32 v21, 16, v22
	v_lshrrev_b32_e32 v25, v29, v32
	v_and_b32_e32 v22, 7, v31
	v_add_co_u32 v19, vcc_lo, v19, s7
	v_and_or_b32 v4, 0x8000, v21, v4
	v_lshlrev_b32_e32 v21, v29, v25
	v_add_co_ci_u32_e32 v20, vcc_lo, s6, v20, vcc_lo
	v_cmp_lt_i32_e32 vcc_lo, 5, v22
	v_cmp_eq_u32_e64 s0, 3, v22
	v_lshrrev_b32_e32 v22, 2, v31
	v_cmp_ne_u32_e64 s1, v21, v32
	v_fma_f16 v9, v158, v27, -v9
	v_lshl_or_b32 v4, v4, 16, v6
	s_or_b32 vcc_lo, s0, vcc_lo
	v_lshrrev_b32_e32 v27, 16, v8
	v_add_co_ci_u32_e32 v22, vcc_lo, 0, v22, vcc_lo
	v_cndmask_b32_e64 v21, 0, 1, s1
	v_cmp_ne_u32_e32 vcc_lo, 0, v12
	v_mul_f64 v[17:18], v[17:18], s[2:3]
	v_cvt_f32_f16_e32 v6, v9
	global_store_dword v[19:20], v2, off
	v_or_b32_e32 v21, v25, v21
	v_lshl_or_b32 v25, v28, 12, v23
	v_cndmask_b32_e64 v12, 0, 1, vcc_lo
	v_cmp_gt_i32_e32 vcc_lo, 1, v28
	s_mul_hi_u32 s1, s4, 0xfffff84c
	s_sub_i32 s8, s1, s4
	v_lshl_or_b32 v12, v12, 9, 0x7c00
	v_cndmask_b32_e32 v25, v25, v21, vcc_lo
	v_cmp_gt_i32_e32 vcc_lo, 31, v26
	v_cndmask_b32_e32 v21, 0x7c00, v22, vcc_lo
	v_and_b32_e32 v22, 7, v25
	v_cmp_eq_u32_e32 vcc_lo, 0x40f, v26
	v_cmp_eq_u32_e64 s0, 3, v22
	v_cndmask_b32_e32 v9, v21, v12, vcc_lo
	v_cmp_lt_i32_e32 vcc_lo, 5, v22
	v_cvt_f64_f32_e32 v[21:22], v6
	v_lshrrev_b32_e32 v6, 2, v25
	v_and_or_b32 v12, 0x1ff, v18, v17
	v_bfe_u32 v25, v18, 20, 11
	s_or_b32 vcc_lo, s0, vcc_lo
	v_and_or_b32 v9, 0x8000, v11, v9
	v_add_co_ci_u32_e32 v6, vcc_lo, 0, v6, vcc_lo
	v_cmp_ne_u32_e32 vcc_lo, 0, v23
	v_lshrrev_b32_e32 v23, 8, v18
	v_and_b32_e32 v9, 0xffff, v9
	s_mul_i32 s0, s5, 0xfffff84c
	v_cndmask_b32_e64 v17, 0, 1, vcc_lo
	v_cmp_ne_u32_e32 vcc_lo, 0, v12
	s_add_i32 s8, s8, s0
	v_lshl_or_b32 v17, v17, 9, 0x7c00
	v_cndmask_b32_e64 v12, 0, 1, vcc_lo
	v_cmp_gt_i32_e32 vcc_lo, 31, v28
	v_and_or_b32 v26, 0xffe, v23, v12
	v_mul_f64 v[11:12], v[21:22], s[2:3]
	v_cndmask_b32_e32 v6, 0x7c00, v6, vcc_lo
	v_sub_nc_u32_e32 v23, 0x3f1, v25
	v_cmp_eq_u32_e32 vcc_lo, 0x40f, v28
	v_mul_f16_sdwa v28, v157, v27 dst_sel:DWORD dst_unused:UNUSED_PAD src0_sel:WORD_1 src1_sel:DWORD
	v_med3_i32 v23, v23, 0, 13
	v_cndmask_b32_e32 v6, v6, v17, vcc_lo
	v_lshrrev_b32_e32 v17, 16, v24
	v_or_b32_e32 v24, 0x1000, v26
	v_add_co_u32 v21, vcc_lo, v19, s7
	v_add_co_ci_u32_e32 v22, vcc_lo, s6, v20, vcc_lo
	v_lshrrev_b32_e32 v29, v23, v24
	v_and_or_b32 v6, 0x8000, v17, v6
	v_fmac_f16_e32 v28, v157, v8
	global_store_dword v[21:22], v4, off
	v_add_nc_u32_e32 v17, 0xfffffc10, v25
	v_lshlrev_b32_e32 v2, v23, v29
	v_lshl_or_b32 v4, v6, 16, v9
	v_and_or_b32 v9, 0x1ff, v12, v11
	v_cvt_f32_f16_e32 v6, v28
	v_lshrrev_b32_e32 v11, 8, v12
	v_cmp_ne_u32_e32 vcc_lo, v2, v24
	v_bfe_u32 v25, v12, 20, 11
	v_mul_f16_sdwa v8, v157, v8 dst_sel:DWORD dst_unused:UNUSED_PAD src0_sel:WORD_1 src1_sel:DWORD
	v_cvt_f64_f32_e32 v[19:20], v6
	v_lshl_or_b32 v6, v17, 12, v26
	v_cndmask_b32_e64 v2, 0, 1, vcc_lo
	v_cmp_ne_u32_e32 vcc_lo, 0, v9
	v_fma_f16 v8, v157, v27, -v8
	v_add_co_u32 v21, s1, v21, s9
	v_or_b32_e32 v2, v29, v2
	v_cndmask_b32_e64 v9, 0, 1, vcc_lo
	v_cmp_gt_i32_e32 vcc_lo, 1, v17
	v_cvt_f32_f16_e32 v8, v8
	v_add_co_ci_u32_e64 v22, s1, s8, v22, s1
	v_lshrrev_b32_e32 v12, 16, v12
	v_cndmask_b32_e32 v2, v6, v2, vcc_lo
	v_and_or_b32 v6, 0xffe, v11, v9
	v_sub_nc_u32_e32 v9, 0x3f1, v25
	v_cvt_f64_f32_e32 v[23:24], v8
	v_add_nc_u32_e32 v25, 0xfffffc10, v25
	v_and_b32_e32 v11, 7, v2
	v_or_b32_e32 v28, 0x1000, v6
	v_med3_i32 v9, v9, 0, 13
	v_lshrrev_b32_e32 v2, 2, v2
	v_mul_f64 v[19:20], v[19:20], s[2:3]
	v_cmp_lt_i32_e32 vcc_lo, 5, v11
	v_cmp_eq_u32_e64 s0, 3, v11
	v_lshrrev_b32_e32 v11, v9, v28
	v_lshl_or_b32 v27, v25, 12, v6
	global_store_dword v[21:22], v4, off
	s_or_b32 vcc_lo, s0, vcc_lo
	v_lshlrev_b32_e32 v8, v9, v11
	v_add_co_ci_u32_e32 v2, vcc_lo, 0, v2, vcc_lo
	v_cmp_ne_u32_e32 vcc_lo, 0, v26
	v_cndmask_b32_e64 v9, 0, 1, vcc_lo
	v_cmp_ne_u32_e32 vcc_lo, v8, v28
	v_lshl_or_b32 v26, v9, 9, 0x7c00
	v_cndmask_b32_e64 v8, 0, 1, vcc_lo
	v_cmp_gt_i32_e32 vcc_lo, 31, v17
	v_and_or_b32 v19, 0x1ff, v20, v19
	v_or_b32_e32 v11, v11, v8
	v_cndmask_b32_e32 v2, 0x7c00, v2, vcc_lo
	v_cmp_eq_u32_e32 vcc_lo, 0x40f, v17
	ds_read2_b32 v[8:9], v13 offset0:16 offset1:33
	v_cndmask_b32_e32 v2, v2, v26, vcc_lo
	v_cmp_gt_i32_e32 vcc_lo, 1, v25
	v_lshrrev_b32_e32 v26, 16, v18
	v_mul_f64 v[17:18], v[23:24], s[2:3]
	v_lshrrev_b32_e32 v23, 8, v20
	v_cndmask_b32_e32 v11, v27, v11, vcc_lo
	v_cmp_ne_u32_e32 vcc_lo, 0, v19
	v_bfe_u32 v27, v20, 20, 11
	v_and_or_b32 v2, 0x8000, v26, v2
	v_lshrrev_b32_e32 v20, 16, v20
	v_and_b32_e32 v24, 7, v11
	v_cndmask_b32_e64 v19, 0, 1, vcc_lo
	v_lshrrev_b32_e32 v11, 2, v11
	v_and_b32_e32 v2, 0xffff, v2
	v_cmp_lt_i32_e32 vcc_lo, 5, v24
	v_cmp_eq_u32_e64 s0, 3, v24
	s_waitcnt lgkmcnt(0)
	v_lshrrev_b32_e32 v28, 16, v8
	v_and_or_b32 v4, 0xffe, v23, v19
	v_sub_nc_u32_e32 v19, 0x3f1, v27
	v_add_nc_u32_e32 v27, 0xfffffc10, v27
	s_or_b32 vcc_lo, s0, vcc_lo
	v_mul_f16_sdwa v23, v156, v28 dst_sel:DWORD dst_unused:UNUSED_PAD src0_sel:WORD_1 src1_sel:DWORD
	v_add_co_ci_u32_e32 v11, vcc_lo, 0, v11, vcc_lo
	v_or_b32_e32 v26, 0x1000, v4
	v_med3_i32 v19, v19, 0, 13
	v_cmp_ne_u32_e32 vcc_lo, 0, v6
	v_fmac_f16_e32 v23, v156, v8
	v_and_or_b32 v17, 0x1ff, v18, v17
	v_lshrrev_b32_e32 v30, 8, v18
	v_lshrrev_b32_e32 v29, v19, v26
	v_cndmask_b32_e64 v6, 0, 1, vcc_lo
	v_cmp_gt_i32_e32 vcc_lo, 31, v25
	v_cvt_f32_f16_e32 v23, v23
	v_bfe_u32 v31, v18, 20, 11
	v_lshlrev_b32_e32 v19, v19, v29
	v_lshl_or_b32 v6, v6, 9, 0x7c00
	v_cndmask_b32_e32 v11, 0x7c00, v11, vcc_lo
	v_cmp_ne_u32_e32 vcc_lo, 0, v17
	v_cvt_f64_f32_e32 v[23:24], v23
	v_mul_f16_sdwa v8, v156, v8 dst_sel:DWORD dst_unused:UNUSED_PAD src0_sel:WORD_1 src1_sel:DWORD
	v_lshrrev_b32_e32 v18, 16, v18
	v_cndmask_b32_e64 v17, 0, 1, vcc_lo
	v_cmp_ne_u32_e32 vcc_lo, v19, v26
	v_sub_nc_u32_e32 v26, 0x3f1, v31
	v_fma_f16 v8, v156, v28, -v8
	v_and_or_b32 v17, 0xffe, v30, v17
	v_cndmask_b32_e64 v19, 0, 1, vcc_lo
	v_cmp_eq_u32_e32 vcc_lo, 0x40f, v25
	v_med3_i32 v26, v26, 0, 13
	v_cvt_f32_f16_e32 v8, v8
	v_or_b32_e32 v25, 0x1000, v17
	v_cndmask_b32_e32 v6, v11, v6, vcc_lo
	v_or_b32_e32 v11, v29, v19
	v_lshl_or_b32 v19, v27, 12, v4
	v_cmp_gt_i32_e32 vcc_lo, 1, v27
	v_lshrrev_b32_e32 v29, v26, v25
	v_and_or_b32 v6, 0x8000, v12, v6
	v_mul_f64 v[23:24], v[23:24], s[2:3]
	v_cndmask_b32_e32 v19, v19, v11, vcc_lo
	v_lshlrev_b32_e32 v26, v26, v29
	v_lshl_or_b32 v2, v6, 16, v2
	v_and_b32_e32 v11, 7, v19
	v_lshrrev_b32_e32 v19, 2, v19
	v_cmp_ne_u32_e64 s1, v26, v25
	v_cmp_lt_i32_e32 vcc_lo, 5, v11
	v_cmp_eq_u32_e64 s0, 3, v11
	v_cvt_f64_f32_e32 v[11:12], v8
	v_cndmask_b32_e64 v6, 0, 1, s1
	v_add_nc_u32_e32 v8, 0xfffffc10, v31
	v_add_co_u32 v21, s1, v21, s7
	s_or_b32 vcc_lo, s0, vcc_lo
	v_or_b32_e32 v6, v29, v6
	v_add_co_ci_u32_e32 v19, vcc_lo, 0, v19, vcc_lo
	v_cmp_ne_u32_e32 vcc_lo, 0, v4
	v_lshl_or_b32 v25, v8, 12, v17
	v_and_or_b32 v23, 0x1ff, v24, v23
	v_add_co_ci_u32_e64 v22, s1, s6, v22, s1
	v_cndmask_b32_e64 v4, 0, 1, vcc_lo
	v_cmp_gt_i32_e32 vcc_lo, 1, v8
	global_store_dword v[21:22], v2, off
	v_lshl_or_b32 v4, v4, 9, 0x7c00
	v_cndmask_b32_e32 v6, v25, v6, vcc_lo
	v_cmp_gt_i32_e32 vcc_lo, 31, v27
	v_mul_f64 v[25:26], v[11:12], s[2:3]
	v_lshrrev_b32_e32 v12, 8, v24
	v_and_b32_e32 v28, 7, v6
	v_cndmask_b32_e32 v19, 0x7c00, v19, vcc_lo
	v_cmp_ne_u32_e32 vcc_lo, 0, v23
	v_bfe_u32 v23, v24, 20, 11
	v_lshrrev_b32_e32 v6, 2, v6
	v_cmp_eq_u32_e64 s0, 3, v28
	v_lshrrev_b32_e32 v24, 16, v24
	v_cndmask_b32_e64 v11, 0, 1, vcc_lo
	v_cmp_eq_u32_e32 vcc_lo, 0x40f, v27
	v_lshrrev_b32_e32 v27, 16, v5
	v_cndmask_b32_e32 v4, v19, v4, vcc_lo
	v_cmp_lt_i32_e32 vcc_lo, 5, v28
	v_and_or_b32 v19, 0xffe, v12, v11
	v_sub_nc_u32_e32 v11, 0x3f1, v23
	v_mul_f16_sdwa v29, v155, v27 dst_sel:DWORD dst_unused:UNUSED_PAD src0_sel:WORD_1 src1_sel:DWORD
	v_add_nc_u32_e32 v23, 0xfffffc10, v23
	s_or_b32 vcc_lo, s0, vcc_lo
	v_or_b32_e32 v12, 0x1000, v19
	v_add_co_ci_u32_e32 v6, vcc_lo, 0, v6, vcc_lo
	v_med3_i32 v11, v11, 0, 13
	v_cmp_ne_u32_e32 vcc_lo, 0, v17
	v_and_or_b32 v25, 0x1ff, v26, v25
	v_lshrrev_b32_e32 v30, 8, v26
	v_bfe_u32 v31, v26, 20, 11
	v_lshrrev_b32_e32 v28, v11, v12
	v_cndmask_b32_e64 v17, 0, 1, vcc_lo
	v_cmp_gt_i32_e32 vcc_lo, 31, v8
	v_fmac_f16_e32 v29, v155, v5
	v_mul_f16_sdwa v5, v155, v5 dst_sel:DWORD dst_unused:UNUSED_PAD src0_sel:WORD_1 src1_sel:DWORD
	v_lshlrev_b32_e32 v11, v11, v28
	v_lshl_or_b32 v17, v17, 9, 0x7c00
	v_cndmask_b32_e32 v6, 0x7c00, v6, vcc_lo
	v_cmp_ne_u32_e32 vcc_lo, 0, v25
	v_cvt_f32_f16_e32 v29, v29
	v_and_or_b32 v4, 0x8000, v20, v4
	v_fma_f16 v5, v155, v27, -v5
	v_cndmask_b32_e64 v25, 0, 1, vcc_lo
	v_cmp_ne_u32_e32 vcc_lo, v11, v12
	v_cvt_f64_f32_e32 v[11:12], v29
	v_lshl_or_b32 v29, v23, 12, v19
	v_and_or_b32 v25, 0xffe, v30, v25
	v_cndmask_b32_e64 v32, 0, 1, vcc_lo
	v_sub_nc_u32_e32 v30, 0x3f1, v31
	v_cmp_eq_u32_e32 vcc_lo, 0x40f, v8
	v_or_b32_e32 v28, v28, v32
	v_or_b32_e32 v32, 0x1000, v25
	v_med3_i32 v30, v30, 0, 13
	v_cndmask_b32_e32 v6, v6, v17, vcc_lo
	v_cmp_gt_i32_e32 vcc_lo, 1, v23
	v_lshrrev_b32_e32 v17, v30, v32
	v_and_or_b32 v6, 0x8000, v18, v6
	v_cndmask_b32_e32 v8, v29, v28, vcc_lo
	v_and_b32_e32 v18, 0xffff, v4
	v_add_nc_u32_e32 v29, 0xfffffc10, v31
	v_lshlrev_b32_e32 v28, v30, v17
	v_and_b32_e32 v20, 7, v8
	v_lshrrev_b32_e32 v8, 2, v8
	v_lshl_or_b32 v6, v6, 16, v18
	v_cmp_ne_u32_e64 s0, v28, v32
	v_cvt_f32_f16_e32 v28, v5
	v_cmp_lt_i32_e32 vcc_lo, 5, v20
	v_mul_f64 v[4:5], v[11:12], s[2:3]
	v_cndmask_b32_e64 v27, 0, 1, s0
	v_cmp_eq_u32_e64 s0, 3, v20
	v_cvt_f64_f32_e32 v[11:12], v28
	v_lshl_or_b32 v20, v29, 12, v25
	v_or_b32_e32 v17, v17, v27
	s_or_b32 vcc_lo, s0, vcc_lo
	v_add_co_ci_u32_e32 v8, vcc_lo, 0, v8, vcc_lo
	v_cmp_ne_u32_e32 vcc_lo, 0, v19
	v_cndmask_b32_e64 v19, 0, 1, vcc_lo
	v_cmp_gt_i32_e32 vcc_lo, 1, v29
	v_lshl_or_b32 v19, v19, 9, 0x7c00
	v_cndmask_b32_e32 v17, v20, v17, vcc_lo
	v_cmp_gt_i32_e32 vcc_lo, 31, v23
	v_and_or_b32 v4, 0x1ff, v5, v4
	v_bfe_u32 v20, v5, 20, 11
	v_and_b32_e32 v2, 7, v17
	v_cndmask_b32_e32 v8, 0x7c00, v8, vcc_lo
	v_cmp_eq_u32_e32 vcc_lo, 0x40f, v23
	v_cmp_ne_u32_e64 s1, 0, v4
	v_cmp_eq_u32_e64 s0, 3, v2
	v_cndmask_b32_e32 v8, v8, v19, vcc_lo
	v_cmp_lt_i32_e32 vcc_lo, 5, v2
	v_lshrrev_b32_e32 v2, 2, v17
	v_mul_f64 v[17:18], v[11:12], s[2:3]
	v_cndmask_b32_e64 v4, 0, 1, s1
	v_lshrrev_b32_e32 v19, 8, v5
	s_or_b32 vcc_lo, s0, vcc_lo
	ds_read2_b32 v[11:12], v13 offset0:186 offset1:203
	v_add_co_ci_u32_e32 v2, vcc_lo, 0, v2, vcc_lo
	v_cmp_ne_u32_e32 vcc_lo, 0, v25
	v_and_or_b32 v4, 0xffe, v19, v4
	v_sub_nc_u32_e32 v19, 0x3f1, v20
	v_and_or_b32 v8, 0x8000, v24, v8
	v_cndmask_b32_e64 v23, 0, 1, vcc_lo
	v_cmp_gt_i32_e32 vcc_lo, 31, v29
	v_or_b32_e32 v25, 0x1000, v4
	v_med3_i32 v19, v19, 0, 13
	v_and_b32_e32 v8, 0xffff, v8
	v_lshl_or_b32 v23, v23, 9, 0x7c00
	v_cndmask_b32_e32 v2, 0x7c00, v2, vcc_lo
	v_cmp_eq_u32_e32 vcc_lo, 0x40f, v29
	v_add_nc_u32_e32 v29, 0xfffffc10, v20
	v_and_or_b32 v17, 0x1ff, v18, v17
	v_lshrrev_b32_e32 v27, 8, v18
	v_cndmask_b32_e32 v2, v2, v23, vcc_lo
	v_lshrrev_b32_e32 v23, 16, v26
	v_lshrrev_b32_e32 v26, v19, v25
	s_waitcnt lgkmcnt(0)
	v_lshrrev_b32_e32 v24, 16, v11
	v_cmp_ne_u32_e32 vcc_lo, 0, v17
	v_bfe_u32 v28, v18, 20, 11
	v_and_or_b32 v2, 0x8000, v23, v2
	v_lshlrev_b32_e32 v19, v19, v26
	v_mul_f16_sdwa v23, v154, v24 dst_sel:DWORD dst_unused:UNUSED_PAD src0_sel:WORD_1 src1_sel:DWORD
	v_cndmask_b32_e64 v17, 0, 1, vcc_lo
	v_sub_nc_u32_e32 v20, 0x3f1, v28
	v_lshl_or_b32 v2, v2, 16, v8
	v_cmp_ne_u32_e32 vcc_lo, v19, v25
	v_fmac_f16_e32 v23, v154, v11
	v_and_or_b32 v17, 0xffe, v27, v17
	v_med3_i32 v27, v20, 0, 13
	v_mul_f16_sdwa v11, v154, v11 dst_sel:DWORD dst_unused:UNUSED_PAD src0_sel:WORD_1 src1_sel:DWORD
	v_cndmask_b32_e64 v19, 0, 1, vcc_lo
	v_cmp_gt_i32_e32 vcc_lo, 1, v29
	v_add_nc_u32_e32 v28, 0xfffffc10, v28
	v_lshrrev_b32_e32 v18, 16, v18
	v_fma_f16 v11, v154, v24, -v11
	v_or_b32_e32 v25, v26, v19
	v_cvt_f32_f16_e32 v19, v23
	v_or_b32_e32 v26, 0x1000, v17
	v_lshl_or_b32 v23, v29, 12, v4
	v_cvt_f32_f16_e32 v11, v11
	v_cvt_f64_f32_e32 v[19:20], v19
	v_lshrrev_b32_e32 v30, v27, v26
	v_cndmask_b32_e32 v25, v23, v25, vcc_lo
	v_add_co_u32 v21, vcc_lo, v21, s7
	v_add_co_ci_u32_e32 v22, vcc_lo, s6, v22, vcc_lo
	v_lshlrev_b32_e32 v27, v27, v30
	v_and_b32_e32 v8, 7, v25
	v_add_co_u32 v23, vcc_lo, v21, s7
	v_add_co_ci_u32_e32 v24, vcc_lo, s6, v22, vcc_lo
	v_cmp_ne_u32_e64 s0, v27, v26
	v_cmp_lt_i32_e32 vcc_lo, 5, v8
	global_store_dword v[21:22], v6, off
	global_store_dword v[23:24], v2, off
	v_cndmask_b32_e64 v27, 0, 1, s0
	v_cmp_eq_u32_e64 s0, 3, v8
	v_lshrrev_b32_e32 v8, 2, v25
	v_cvt_f64_f32_e32 v[25:26], v11
	v_mul_f64 v[19:20], v[19:20], s[2:3]
	v_or_b32_e32 v11, v30, v27
	s_or_b32 vcc_lo, s0, vcc_lo
	v_lshl_or_b32 v27, v28, 12, v17
	v_add_co_ci_u32_e32 v8, vcc_lo, 0, v8, vcc_lo
	v_cmp_ne_u32_e32 vcc_lo, 0, v4
	v_cndmask_b32_e64 v4, 0, 1, vcc_lo
	v_cmp_gt_i32_e32 vcc_lo, 1, v28
	v_lshl_or_b32 v4, v4, 9, 0x7c00
	v_cndmask_b32_e32 v11, v27, v11, vcc_lo
	v_cmp_gt_i32_e32 vcc_lo, 31, v29
	v_mul_f64 v[21:22], v[25:26], s[2:3]
	v_and_b32_e32 v2, 7, v11
	v_cndmask_b32_e32 v8, 0x7c00, v8, vcc_lo
	v_cmp_eq_u32_e32 vcc_lo, 0x40f, v29
	v_cmp_eq_u32_e64 s0, 3, v2
	v_cndmask_b32_e32 v6, v8, v4, vcc_lo
	v_and_or_b32 v4, 0x1ff, v20, v19
	v_cmp_lt_i32_e32 vcc_lo, 5, v2
	v_lshrrev_b32_e32 v2, 2, v11
	v_lshrrev_b32_e32 v8, 16, v5
	;; [unrolled: 1-line block ×3, first 2 shown]
	v_cmp_ne_u32_e64 s1, 0, v4
	v_bfe_u32 v11, v20, 20, 11
	s_or_b32 vcc_lo, s0, vcc_lo
	v_lshrrev_b32_e32 v19, 16, v7
	v_add_co_ci_u32_e32 v2, vcc_lo, 0, v2, vcc_lo
	v_cndmask_b32_e64 v4, 0, 1, s1
	v_cmp_ne_u32_e32 vcc_lo, 0, v17
	v_and_or_b32 v21, 0x1ff, v22, v21
	v_bfe_u32 v29, v22, 20, 11
	v_and_or_b32 v6, 0x8000, v8, v6
	v_and_or_b32 v25, 0xffe, v5, v4
	v_sub_nc_u32_e32 v4, 0x3f1, v11
	v_mul_f16_sdwa v5, v153, v19 dst_sel:DWORD dst_unused:UNUSED_PAD src0_sel:WORD_1 src1_sel:DWORD
	v_cndmask_b32_e64 v17, 0, 1, vcc_lo
	v_cmp_gt_i32_e32 vcc_lo, 31, v28
	v_or_b32_e32 v26, 0x1000, v25
	v_med3_i32 v4, v4, 0, 13
	v_fmac_f16_e32 v5, v153, v7
	v_lshl_or_b32 v17, v17, 9, 0x7c00
	v_cndmask_b32_e32 v2, 0x7c00, v2, vcc_lo
	v_cmp_eq_u32_e32 vcc_lo, 0x40f, v28
	v_lshrrev_b32_e32 v27, v4, v26
	v_cvt_f32_f16_e32 v5, v5
	v_add_nc_u32_e32 v11, 0xfffffc10, v11
	v_lshrrev_b32_e32 v28, 8, v22
	v_cndmask_b32_e32 v2, v2, v17, vcc_lo
	v_lshlrev_b32_e32 v17, v4, v27
	v_cmp_ne_u32_e32 vcc_lo, 0, v21
	v_cvt_f64_f32_e32 v[4:5], v5
	v_mul_f16_sdwa v7, v153, v7 dst_sel:DWORD dst_unused:UNUSED_PAD src0_sel:WORD_1 src1_sel:DWORD
	v_and_or_b32 v2, 0x8000, v18, v2
	v_and_b32_e32 v30, 0xffff, v6
	v_cndmask_b32_e64 v21, 0, 1, vcc_lo
	v_cmp_ne_u32_e32 vcc_lo, v17, v26
	v_sub_nc_u32_e32 v26, 0x3f1, v29
	v_fma_f16 v18, v153, v19, -v7
	v_lshl_or_b32 v2, v2, 16, v30
	v_and_or_b32 v21, 0xffe, v28, v21
	v_cndmask_b32_e64 v17, 0, 1, vcc_lo
	v_cmp_gt_i32_e32 vcc_lo, 1, v11
	v_med3_i32 v26, v26, 0, 13
	v_or_b32_e32 v28, 0x1000, v21
	v_or_b32_e32 v17, v27, v17
	v_lshl_or_b32 v27, v11, 12, v25
	v_lshrrev_b32_e32 v19, v26, v28
	v_cndmask_b32_e32 v17, v27, v17, vcc_lo
	v_mul_f64 v[7:8], v[4:5], s[2:3]
	v_cvt_f32_f16_e32 v4, v18
	v_lshlrev_b32_e32 v5, v26, v19
	v_add_nc_u32_e32 v26, 0xfffffc10, v29
	v_and_b32_e32 v27, 7, v17
	v_lshrrev_b32_e32 v6, 2, v17
	v_cvt_f64_f32_e32 v[17:18], v4
	v_cmp_ne_u32_e64 s1, v5, v28
	v_cmp_lt_i32_e32 vcc_lo, 5, v27
	v_cmp_eq_u32_e64 s0, 3, v27
	v_cndmask_b32_e64 v4, 0, 1, s1
	s_or_b32 vcc_lo, s0, vcc_lo
	v_add_co_ci_u32_e32 v27, vcc_lo, 0, v6, vcc_lo
	v_cmp_ne_u32_e32 vcc_lo, 0, v25
	v_or_b32_e32 v4, v19, v4
	v_lshl_or_b32 v19, v26, 12, v21
	ds_read2_b32 v[5:6], v129 offset0:34 offset1:51
	v_and_or_b32 v7, 0x1ff, v8, v7
	v_cndmask_b32_e64 v25, 0, 1, vcc_lo
	v_cmp_gt_i32_e32 vcc_lo, 31, v11
	v_mul_f64 v[17:18], v[17:18], s[2:3]
	v_lshl_or_b32 v25, v25, 9, 0x7c00
	v_cndmask_b32_e32 v27, 0x7c00, v27, vcc_lo
	v_cmp_gt_i32_e32 vcc_lo, 1, v26
	v_cndmask_b32_e32 v4, v19, v4, vcc_lo
	v_cmp_eq_u32_e32 vcc_lo, 0x40f, v11
	v_lshrrev_b32_e32 v19, 16, v20
	v_and_b32_e32 v20, 7, v4
	v_cndmask_b32_e32 v11, v27, v25, vcc_lo
	v_cmp_ne_u32_e32 vcc_lo, 0, v7
	v_lshrrev_b32_e32 v25, 8, v8
	v_lshrrev_b32_e32 v4, 2, v4
	v_cmp_eq_u32_e64 s0, 3, v20
	v_bfe_u32 v27, v8, 20, 11
	v_cndmask_b32_e64 v7, 0, 1, vcc_lo
	v_cmp_lt_i32_e32 vcc_lo, 5, v20
	v_and_or_b32 v17, 0x1ff, v18, v17
	v_and_or_b32 v11, 0x8000, v19, v11
	v_sub_nc_u32_e32 v20, 0x3f1, v27
	v_and_or_b32 v7, 0xffe, v25, v7
	s_or_b32 vcc_lo, s0, vcc_lo
	s_waitcnt lgkmcnt(0)
	v_lshrrev_b32_e32 v25, 16, v5
	v_add_co_ci_u32_e32 v4, vcc_lo, 0, v4, vcc_lo
	v_cmp_gt_i32_e32 vcc_lo, 31, v26
	v_or_b32_e32 v28, 0x1000, v7
	v_mul_f16_sdwa v29, v152, v25 dst_sel:DWORD dst_unused:UNUSED_PAD src0_sel:WORD_1 src1_sel:DWORD
	v_med3_i32 v20, v20, 0, 13
	v_bfe_u32 v33, v18, 20, 11
	v_cndmask_b32_e32 v4, 0x7c00, v4, vcc_lo
	v_cmp_ne_u32_e32 vcc_lo, 0, v21
	v_fmac_f16_e32 v29, v152, v5
	v_lshrrev_b32_e32 v31, v20, v28
	v_add_nc_u32_e32 v27, 0xfffffc10, v27
	v_and_b32_e32 v11, 0xffff, v11
	v_cndmask_b32_e64 v21, 0, 1, vcc_lo
	v_cmp_ne_u32_e32 vcc_lo, 0, v17
	v_cvt_f32_f16_e32 v19, v29
	v_lshlrev_b32_e32 v32, v20, v31
	v_lshrrev_b32_e32 v29, 8, v18
	v_lshl_or_b32 v21, v21, 9, 0x7c00
	v_cndmask_b32_e64 v17, 0, 1, vcc_lo
	v_cvt_f64_f32_e32 v[19:20], v19
	v_cmp_ne_u32_e32 vcc_lo, v32, v28
	v_mul_f16_sdwa v30, v152, v5 dst_sel:DWORD dst_unused:UNUSED_PAD src0_sel:WORD_1 src1_sel:DWORD
	v_lshrrev_b32_e32 v8, 16, v8
	v_and_or_b32 v17, 0xffe, v29, v17
	v_sub_nc_u32_e32 v29, 0x3f1, v33
	v_cndmask_b32_e64 v28, 0, 1, vcc_lo
	v_cmp_eq_u32_e32 vcc_lo, 0x40f, v26
	v_lshrrev_b32_e32 v18, 16, v18
	v_or_b32_e32 v32, 0x1000, v17
	v_med3_i32 v29, v29, 0, 13
	v_or_b32_e32 v28, v31, v28
	v_lshl_or_b32 v31, v27, 12, v7
	v_cndmask_b32_e32 v4, v4, v21, vcc_lo
	v_cmp_gt_i32_e32 vcc_lo, 1, v27
	v_lshrrev_b32_e32 v26, v29, v32
	v_lshrrev_b32_e32 v21, 16, v22
	v_cndmask_b32_e32 v22, v31, v28, vcc_lo
	v_lshlrev_b32_e32 v29, v29, v26
	v_and_or_b32 v21, 0x8000, v21, v4
	v_mul_f64 v[19:20], v[19:20], s[2:3]
	v_add_co_u32 v4, vcc_lo, v23, s7
	v_and_b32_e32 v28, 7, v22
	v_cmp_ne_u32_e64 s0, v29, v32
	v_lshl_or_b32 v31, v21, 16, v11
	v_fma_f16 v11, v152, v25, -v30
	v_add_co_ci_u32_e32 v5, vcc_lo, s6, v24, vcc_lo
	v_cmp_lt_i32_e32 vcc_lo, 5, v28
	v_cndmask_b32_e64 v21, 0, 1, s0
	v_cmp_eq_u32_e64 s0, 3, v28
	v_cvt_f32_f16_e32 v11, v11
	v_lshrrev_b32_e32 v23, 2, v22
	v_add_nc_u32_e32 v25, 0xfffffc10, v33
	v_or_b32_e32 v24, v26, v21
	s_or_b32 vcc_lo, s0, vcc_lo
	v_cvt_f64_f32_e32 v[21:22], v11
	v_add_co_ci_u32_e32 v11, vcc_lo, 0, v23, vcc_lo
	v_cmp_ne_u32_e32 vcc_lo, 0, v7
	v_lshl_or_b32 v26, v25, 12, v17
	v_and_or_b32 v19, 0x1ff, v20, v19
	v_bfe_u32 v28, v20, 20, 11
	v_lshrrev_b32_e32 v32, 16, v10
	v_cndmask_b32_e64 v7, 0, 1, vcc_lo
	v_cmp_gt_i32_e32 vcc_lo, 1, v25
	global_store_dword v[4:5], v2, off
	v_lshl_or_b32 v7, v7, 9, 0x7c00
	v_cndmask_b32_e32 v23, v26, v24, vcc_lo
	v_cmp_gt_i32_e32 vcc_lo, 31, v27
	v_lshrrev_b32_e32 v26, 8, v20
	v_lshrrev_b32_e32 v20, 16, v20
	v_and_b32_e32 v24, 7, v23
	v_cndmask_b32_e32 v11, 0x7c00, v11, vcc_lo
	v_cmp_ne_u32_e32 vcc_lo, 0, v19
	v_mul_f64 v[21:22], v[21:22], s[2:3]
	v_lshrrev_b32_e32 v23, 2, v23
	v_cmp_eq_u32_e64 s0, 3, v24
	v_cndmask_b32_e64 v19, 0, 1, vcc_lo
	v_cmp_eq_u32_e32 vcc_lo, 0x40f, v27
	v_and_or_b32 v19, 0xffe, v26, v19
	v_cndmask_b32_e32 v7, v11, v7, vcc_lo
	v_sub_nc_u32_e32 v11, 0x3f1, v28
	v_cmp_lt_i32_e32 vcc_lo, 5, v24
	v_or_b32_e32 v26, 0x1000, v19
	v_and_or_b32 v30, 0x8000, v8, v7
	v_med3_i32 v11, v11, 0, 13
	s_or_b32 vcc_lo, s0, vcc_lo
	v_add_co_ci_u32_e32 v27, vcc_lo, 0, v23, vcc_lo
	v_lshrrev_b32_e32 v29, v11, v26
	v_add_co_u32 v23, vcc_lo, v4, s7
	v_add_co_ci_u32_e32 v24, vcc_lo, s6, v5, vcc_lo
	v_lshlrev_b32_e32 v11, v11, v29
	v_cmp_gt_i32_e32 vcc_lo, 31, v25
	v_and_or_b32 v8, 0x1ff, v22, v21
	global_store_dword v[23:24], v31, off
	v_cndmask_b32_e32 v27, 0x7c00, v27, vcc_lo
	v_cmp_ne_u32_e32 vcc_lo, v11, v26
	v_mul_f16_sdwa v11, v151, v32 dst_sel:DWORD dst_unused:UNUSED_PAD src0_sel:WORD_1 src1_sel:DWORD
	v_add_nc_u32_e32 v26, 0xfffffc10, v28
	v_lshrrev_b32_e32 v28, 8, v22
	v_cndmask_b32_e64 v7, 0, 1, vcc_lo
	v_cmp_ne_u32_e32 vcc_lo, 0, v17
	v_fmac_f16_e32 v11, v151, v10
	v_lshl_or_b32 v21, v26, 12, v19
	v_mul_f16_sdwa v10, v151, v10 dst_sel:DWORD dst_unused:UNUSED_PAD src0_sel:WORD_1 src1_sel:DWORD
	v_or_b32_e32 v7, v29, v7
	v_cndmask_b32_e64 v17, 0, 1, vcc_lo
	v_cmp_ne_u32_e32 vcc_lo, 0, v8
	v_bfe_u32 v29, v22, 20, 11
	v_cvt_f32_f16_e32 v11, v11
	v_fma_f16 v10, v151, v32, -v10
	v_lshrrev_b32_e32 v22, 16, v22
	v_cndmask_b32_e64 v8, 0, 1, vcc_lo
	v_cmp_gt_i32_e32 vcc_lo, 1, v26
	v_sub_nc_u32_e32 v33, 0x3f1, v29
	v_add_nc_u32_e32 v29, 0xfffffc10, v29
	v_and_or_b32 v28, 0xffe, v28, v8
	v_cndmask_b32_e32 v21, v21, v7, vcc_lo
	v_cvt_f64_f32_e32 v[7:8], v11
	v_lshl_or_b32 v11, v17, 9, 0x7c00
	v_cmp_eq_u32_e32 vcc_lo, 0x40f, v25
	v_or_b32_e32 v34, 0x1000, v28
	v_med3_i32 v33, v33, 0, 13
	v_and_b32_e32 v17, 7, v21
	v_cndmask_b32_e32 v11, v27, v11, vcc_lo
	v_lshrrev_b32_e32 v25, v33, v34
	v_cmp_lt_i32_e32 vcc_lo, 5, v17
	v_cmp_eq_u32_e64 s0, 3, v17
	v_and_or_b32 v27, 0x8000, v18, v11
	v_lshrrev_b32_e32 v11, 2, v21
	v_lshlrev_b32_e32 v17, v33, v25
	v_cvt_f32_f16_e32 v18, v10
	s_or_b32 vcc_lo, s0, vcc_lo
	v_add_co_ci_u32_e32 v21, vcc_lo, 0, v11, vcc_lo
	v_cmp_ne_u32_e32 vcc_lo, v17, v34
	v_cvt_f64_f32_e32 v[17:18], v18
	v_mul_f64 v[10:11], v[7:8], s[2:3]
	v_cndmask_b32_e64 v32, 0, 1, vcc_lo
	v_cmp_ne_u32_e32 vcc_lo, 0, v19
	v_lshl_or_b32 v19, v29, 12, v28
	v_or_b32_e32 v8, v25, v32
	v_cndmask_b32_e64 v7, 0, 1, vcc_lo
	v_cmp_gt_i32_e32 vcc_lo, 31, v26
	v_and_b32_e32 v25, 0xffff, v30
	v_lshl_or_b32 v7, v7, 9, 0x7c00
	v_cndmask_b32_e32 v21, 0x7c00, v21, vcc_lo
	v_cmp_gt_i32_e32 vcc_lo, 1, v29
	v_lshl_or_b32 v25, v27, 16, v25
	v_cndmask_b32_e32 v19, v19, v8, vcc_lo
	v_cmp_eq_u32_e32 vcc_lo, 0x40f, v26
	v_and_or_b32 v10, 0x1ff, v11, v10
	v_mul_f64 v[4:5], v[17:18], s[2:3]
	v_lshrrev_b32_e32 v17, 8, v11
	v_and_b32_e32 v2, 7, v19
	v_cndmask_b32_e32 v21, v21, v7, vcc_lo
	ds_read2_b32 v[7:8], v129 offset0:204 offset1:221
	v_cmp_ne_u32_e64 s1, 0, v10
	v_cmp_lt_i32_e32 vcc_lo, 5, v2
	v_cmp_eq_u32_e64 s0, 3, v2
	v_lshrrev_b32_e32 v2, 2, v19
	v_cndmask_b32_e64 v10, 0, 1, s1
	v_bfe_u32 v19, v11, 20, 11
	v_and_or_b32 v20, 0x8000, v20, v21
	s_or_b32 vcc_lo, s0, vcc_lo
	v_add_co_ci_u32_e32 v2, vcc_lo, 0, v2, vcc_lo
	v_and_or_b32 v10, 0xffe, v17, v10
	v_sub_nc_u32_e32 v17, 0x3f1, v19
	v_cmp_ne_u32_e32 vcc_lo, 0, v28
	v_or_b32_e32 v21, 0x1000, v10
	v_med3_i32 v17, v17, 0, 13
	s_waitcnt lgkmcnt(0)
	v_lshrrev_b32_e32 v26, 16, v7
	v_cndmask_b32_e64 v18, 0, 1, vcc_lo
	v_cmp_gt_i32_e32 vcc_lo, 31, v29
	v_and_or_b32 v4, 0x1ff, v5, v4
	v_lshrrev_b32_e32 v28, v17, v21
	v_mul_f16_sdwa v27, v150, v26 dst_sel:DWORD dst_unused:UNUSED_PAD src0_sel:WORD_1 src1_sel:DWORD
	v_lshl_or_b32 v18, v18, 9, 0x7c00
	v_cndmask_b32_e32 v2, 0x7c00, v2, vcc_lo
	v_cmp_eq_u32_e32 vcc_lo, 0x40f, v29
	v_lshlrev_b32_e32 v29, v17, v28
	v_fmac_f16_e32 v27, v150, v7
	v_bfe_u32 v30, v5, 20, 11
	v_mul_f16_sdwa v7, v150, v7 dst_sel:DWORD dst_unused:UNUSED_PAD src0_sel:WORD_1 src1_sel:DWORD
	v_cndmask_b32_e32 v2, v2, v18, vcc_lo
	v_cmp_ne_u32_e32 vcc_lo, 0, v4
	v_cvt_f32_f16_e32 v17, v27
	v_lshrrev_b32_e32 v27, 8, v5
	v_fma_f16 v7, v150, v26, -v7
	v_and_or_b32 v2, 0x8000, v22, v2
	v_cndmask_b32_e64 v4, 0, 1, vcc_lo
	v_cmp_ne_u32_e32 vcc_lo, v29, v21
	v_cvt_f64_f32_e32 v[17:18], v17
	v_add_nc_u32_e32 v29, 0xfffffc10, v19
	v_sub_nc_u32_e32 v19, 0x3f1, v30
	v_and_or_b32 v4, 0xffe, v27, v4
	v_cndmask_b32_e64 v21, 0, 1, vcc_lo
	v_and_b32_e32 v22, 0xffff, v20
	v_lshl_or_b32 v27, v29, 12, v10
	v_med3_i32 v31, v19, 0, 13
	v_cmp_gt_i32_e32 vcc_lo, 1, v29
	v_or_b32_e32 v21, v28, v21
	v_or_b32_e32 v28, 0x1000, v4
	v_lshl_or_b32 v2, v2, 16, v22
	v_cvt_f32_f16_e32 v7, v7
	v_add_nc_u32_e32 v26, 0xfffffc10, v30
	v_cndmask_b32_e32 v27, v27, v21, vcc_lo
	v_lshrrev_b32_e32 v32, v31, v28
	v_add_co_u32 v19, vcc_lo, v23, s7
	v_add_co_ci_u32_e32 v20, vcc_lo, s6, v24, vcc_lo
	v_lshlrev_b32_e32 v24, v31, v32
	v_and_b32_e32 v23, 7, v27
	v_mul_f64 v[17:18], v[17:18], s[2:3]
	v_add_co_u32 v21, vcc_lo, v19, s9
	v_cmp_ne_u32_e64 s0, v24, v28
	v_add_co_ci_u32_e32 v22, vcc_lo, s8, v20, vcc_lo
	v_cmp_lt_i32_e32 vcc_lo, 5, v23
	v_lshrrev_b32_e32 v27, 2, v27
	v_cndmask_b32_e64 v24, 0, 1, s0
	v_cmp_eq_u32_e64 s0, 3, v23
	v_lshl_or_b32 v30, v26, 12, v4
	global_store_dword v[19:20], v25, off
	global_store_dword v[21:22], v2, off
	v_or_b32_e32 v28, v32, v24
	s_or_b32 vcc_lo, s0, vcc_lo
	v_cvt_f64_f32_e32 v[23:24], v7
	v_add_co_ci_u32_e32 v7, vcc_lo, 0, v27, vcc_lo
	v_cmp_ne_u32_e32 vcc_lo, 0, v10
	v_and_or_b32 v17, 0x1ff, v18, v17
	v_cndmask_b32_e64 v10, 0, 1, vcc_lo
	v_cmp_gt_i32_e32 vcc_lo, 1, v26
	v_bfe_u32 v31, v18, 20, 11
	v_lshl_or_b32 v10, v10, 9, 0x7c00
	v_cndmask_b32_e32 v27, v30, v28, vcc_lo
	v_cmp_gt_i32_e32 vcc_lo, 31, v29
	v_lshrrev_b32_e32 v30, 8, v18
	v_and_b32_e32 v28, 7, v27
	v_cndmask_b32_e32 v7, 0x7c00, v7, vcc_lo
	v_cmp_ne_u32_e32 vcc_lo, 0, v17
	v_cmp_eq_u32_e64 s0, 3, v28
	v_cndmask_b32_e64 v17, 0, 1, vcc_lo
	v_cmp_eq_u32_e32 vcc_lo, 0x40f, v29
	v_lshrrev_b32_e32 v29, 16, v11
	v_and_or_b32 v17, 0xffe, v30, v17
	v_cndmask_b32_e32 v7, v7, v10, vcc_lo
	v_cmp_lt_i32_e32 vcc_lo, 5, v28
	v_mul_f64 v[10:11], v[23:24], s[2:3]
	v_lshrrev_b32_e32 v24, 2, v27
	v_sub_nc_u32_e32 v30, 0x3f1, v31
	v_or_b32_e32 v27, 0x1000, v17
	s_or_b32 vcc_lo, s0, vcc_lo
	v_lshrrev_b32_e32 v23, 16, v9
	v_add_co_ci_u32_e32 v24, vcc_lo, 0, v24, vcc_lo
	v_med3_i32 v28, v30, 0, 13
	v_cmp_ne_u32_e32 vcc_lo, 0, v4
	v_mul_f16_sdwa v30, v149, v23 dst_sel:DWORD dst_unused:UNUSED_PAD src0_sel:WORD_1 src1_sel:DWORD
	v_and_or_b32 v7, 0x8000, v29, v7
	v_lshrrev_b32_e32 v32, v28, v27
	v_cndmask_b32_e64 v4, 0, 1, vcc_lo
	v_cmp_gt_i32_e32 vcc_lo, 31, v26
	v_fmac_f16_e32 v30, v149, v9
	v_and_b32_e32 v7, 0xffff, v7
	v_lshlrev_b32_e32 v28, v28, v32
	v_lshl_or_b32 v4, v4, 9, 0x7c00
	v_cndmask_b32_e32 v24, 0x7c00, v24, vcc_lo
	v_cmp_eq_u32_e32 vcc_lo, 0x40f, v26
	v_and_or_b32 v10, 0x1ff, v11, v10
	v_cvt_f32_f16_e32 v29, v30
	v_lshrrev_b32_e32 v26, 16, v5
	v_bfe_u32 v30, v11, 20, 11
	v_cndmask_b32_e32 v24, v24, v4, vcc_lo
	v_cmp_ne_u32_e32 vcc_lo, v28, v27
	v_cvt_f64_f32_e32 v[4:5], v29
	v_add_nc_u32_e32 v28, 0xfffffc10, v31
	v_lshrrev_b32_e32 v29, 8, v11
	v_and_or_b32 v24, 0x8000, v26, v24
	v_cndmask_b32_e64 v27, 0, 1, vcc_lo
	v_cmp_ne_u32_e32 vcc_lo, 0, v10
	v_lshrrev_b32_e32 v11, 16, v11
	v_lshl_or_b32 v2, v24, 16, v7
	v_or_b32_e32 v26, v32, v27
	v_cndmask_b32_e64 v10, 0, 1, vcc_lo
	v_lshl_or_b32 v27, v28, 12, v17
	v_cmp_gt_i32_e32 vcc_lo, 1, v28
	v_and_or_b32 v29, 0xffe, v29, v10
	v_sub_nc_u32_e32 v10, 0x3f1, v30
	v_cndmask_b32_e32 v26, v27, v26, vcc_lo
	v_or_b32_e32 v27, 0x1000, v29
	v_med3_i32 v31, v10, 0, 13
	v_and_b32_e32 v7, 7, v26
	v_mul_f64 v[19:20], v[4:5], s[2:3]
	v_mul_f16_sdwa v4, v149, v9 dst_sel:DWORD dst_unused:UNUSED_PAD src0_sel:WORD_1 src1_sel:DWORD
	v_add_co_u32 v9, vcc_lo, v21, s7
	v_lshrrev_b32_e32 v24, v31, v27
	v_add_co_ci_u32_e32 v10, vcc_lo, s6, v22, vcc_lo
	v_cmp_lt_i32_e32 vcc_lo, 5, v7
	v_cmp_eq_u32_e64 s0, 3, v7
	v_lshlrev_b32_e32 v5, v31, v24
	v_fma_f16 v4, v149, v23, -v4
	v_lshrrev_b32_e32 v7, 2, v26
	v_add_nc_u32_e32 v23, 0xfffffc10, v30
	s_or_b32 vcc_lo, s0, vcc_lo
	v_cmp_ne_u32_e64 s1, v5, v27
	v_cvt_f32_f16_e32 v4, v4
	v_add_co_ci_u32_e32 v7, vcc_lo, 0, v7, vcc_lo
	v_cmp_ne_u32_e32 vcc_lo, 0, v17
	v_cndmask_b32_e64 v5, 0, 1, s1
	v_cvt_f64_f32_e32 v[21:22], v4
	v_lshl_or_b32 v25, v23, 12, v29
	v_and_or_b32 v19, 0x1ff, v20, v19
	v_cndmask_b32_e64 v17, 0, 1, vcc_lo
	v_or_b32_e32 v24, v24, v5
	v_cmp_gt_i32_e32 vcc_lo, 1, v23
	ds_read2_b32 v[4:5], v13 offset0:118 offset1:135
	v_lshrrev_b32_e32 v26, 8, v20
	v_lshl_or_b32 v17, v17, 9, 0x7c00
	v_bfe_u32 v27, v20, 20, 11
	v_cndmask_b32_e32 v24, v25, v24, vcc_lo
	v_cmp_gt_i32_e32 vcc_lo, 31, v28
	global_store_dword v[9:10], v2, off
	v_lshrrev_b32_e32 v20, 16, v20
	v_and_b32_e32 v25, 7, v24
	v_cndmask_b32_e32 v7, 0x7c00, v7, vcc_lo
	v_cmp_ne_u32_e32 vcc_lo, 0, v19
	v_cmp_eq_u32_e64 s0, 3, v25
	v_cndmask_b32_e64 v19, 0, 1, vcc_lo
	v_cmp_eq_u32_e32 vcc_lo, 0x40f, v28
	v_lshrrev_b32_e32 v28, 16, v18
	s_waitcnt lgkmcnt(0)
	v_lshrrev_b32_e32 v30, 16, v4
	v_and_or_b32 v19, 0xffe, v26, v19
	v_cndmask_b32_e32 v7, v7, v17, vcc_lo
	v_cmp_lt_i32_e32 vcc_lo, 5, v25
	v_mul_f64 v[17:18], v[21:22], s[2:3]
	v_lshrrev_b32_e32 v21, 2, v24
	v_sub_nc_u32_e32 v26, 0x3f1, v27
	v_or_b32_e32 v24, 0x1000, v19
	s_or_b32 vcc_lo, s0, vcc_lo
	v_mul_f16_sdwa v25, v148, v30 dst_sel:DWORD dst_unused:UNUSED_PAD src0_sel:WORD_1 src1_sel:DWORD
	v_add_co_ci_u32_e32 v21, vcc_lo, 0, v21, vcc_lo
	v_med3_i32 v22, v26, 0, 13
	v_cmp_ne_u32_e32 vcc_lo, 0, v29
	v_fmac_f16_e32 v25, v148, v4
	v_and_or_b32 v7, 0x8000, v28, v7
	v_mul_f16_sdwa v2, v148, v4 dst_sel:DWORD dst_unused:UNUSED_PAD src0_sel:WORD_1 src1_sel:DWORD
	v_lshrrev_b32_e32 v29, v22, v24
	v_cndmask_b32_e64 v26, 0, 1, vcc_lo
	v_cmp_gt_i32_e32 vcc_lo, 31, v23
	v_and_b32_e32 v7, 0xffff, v7
	v_fma_f16 v2, v148, v30, -v2
	v_lshlrev_b32_e32 v28, v22, v29
	v_lshl_or_b32 v26, v26, 9, 0x7c00
	v_cndmask_b32_e32 v21, 0x7c00, v21, vcc_lo
	v_cmp_eq_u32_e32 vcc_lo, 0x40f, v23
	v_cvt_f32_f16_e32 v22, v25
	v_and_or_b32 v17, 0x1ff, v18, v17
	v_add_nc_u32_e32 v25, 0xfffffc10, v27
	v_bfe_u32 v27, v18, 20, 11
	v_cndmask_b32_e32 v23, v21, v26, vcc_lo
	v_cmp_ne_u32_e32 vcc_lo, v28, v24
	v_cvt_f64_f32_e32 v[21:22], v22
	v_lshrrev_b32_e32 v26, 8, v18
	v_cvt_f32_f16_e32 v2, v2
	v_and_or_b32 v11, 0x8000, v11, v23
	v_cndmask_b32_e64 v24, 0, 1, vcc_lo
	v_cmp_ne_u32_e32 vcc_lo, 0, v17
	v_lshrrev_b32_e32 v18, 16, v18
	v_lshl_or_b32 v4, v11, 16, v7
	v_or_b32_e32 v23, v29, v24
	v_cndmask_b32_e64 v17, 0, 1, vcc_lo
	v_lshl_or_b32 v24, v25, 12, v19
	v_cmp_gt_i32_e32 vcc_lo, 1, v25
	v_and_or_b32 v17, 0xffe, v26, v17
	v_sub_nc_u32_e32 v26, 0x3f1, v27
	v_cndmask_b32_e32 v28, v24, v23, vcc_lo
	v_add_co_u32 v23, vcc_lo, v9, s7
	v_or_b32_e32 v29, 0x1000, v17
	v_med3_i32 v26, v26, 0, 13
	v_and_b32_e32 v7, 7, v28
	v_mul_f64 v[21:22], v[21:22], s[2:3]
	v_add_co_ci_u32_e32 v24, vcc_lo, s6, v10, vcc_lo
	v_lshrrev_b32_e32 v11, v26, v29
	v_cmp_lt_i32_e32 vcc_lo, 5, v7
	v_cmp_eq_u32_e64 s0, 3, v7
	v_lshrrev_b32_e32 v7, 2, v28
	v_add_nc_u32_e32 v27, 0xfffffc10, v27
	v_lshlrev_b32_e32 v9, v26, v11
	v_lshrrev_b32_e32 v28, 16, v12
	s_or_b32 vcc_lo, s0, vcc_lo
	global_store_dword v[23:24], v4, off
	v_cmp_ne_u32_e64 s1, v9, v29
	v_cvt_f64_f32_e32 v[9:10], v2
	v_add_co_ci_u32_e32 v2, vcc_lo, 0, v7, vcc_lo
	v_cmp_ne_u32_e32 vcc_lo, 0, v19
	v_cndmask_b32_e64 v26, 0, 1, s1
	v_lshl_or_b32 v19, v27, 12, v17
	v_cndmask_b32_e64 v7, 0, 1, vcc_lo
	v_cmp_gt_i32_e32 vcc_lo, 31, v25
	v_or_b32_e32 v11, v11, v26
	v_and_or_b32 v21, 0x1ff, v22, v21
	v_bfe_u32 v26, v22, 20, 11
	v_lshl_or_b32 v7, v7, 9, 0x7c00
	v_cndmask_b32_e32 v2, 0x7c00, v2, vcc_lo
	v_cmp_gt_i32_e32 vcc_lo, 1, v27
	v_cndmask_b32_e32 v19, v19, v11, vcc_lo
	v_cmp_ne_u32_e32 vcc_lo, 0, v21
	v_lshrrev_b32_e32 v21, 8, v22
	v_cndmask_b32_e64 v11, 0, 1, vcc_lo
	v_cmp_eq_u32_e32 vcc_lo, 0x40f, v25
	v_and_or_b32 v21, 0xffe, v21, v11
	v_cndmask_b32_e32 v2, v2, v7, vcc_lo
	v_and_b32_e32 v7, 7, v19
	v_mul_f64 v[10:11], v[9:10], s[2:3]
	v_sub_nc_u32_e32 v9, 0x3f1, v26
	v_or_b32_e32 v25, 0x1000, v21
	v_and_or_b32 v2, 0x8000, v20, v2
	v_cmp_lt_i32_e32 vcc_lo, 5, v7
	v_cmp_eq_u32_e64 s0, 3, v7
	v_lshrrev_b32_e32 v7, 2, v19
	v_med3_i32 v9, v9, 0, 13
	v_mul_f16_sdwa v19, v147, v28 dst_sel:DWORD dst_unused:UNUSED_PAD src0_sel:WORD_1 src1_sel:DWORD
	v_add_nc_u32_e32 v26, 0xfffffc10, v26
	s_or_b32 vcc_lo, s0, vcc_lo
	v_and_b32_e32 v2, 0xffff, v2
	v_add_co_ci_u32_e32 v7, vcc_lo, 0, v7, vcc_lo
	v_lshrrev_b32_e32 v20, v9, v25
	v_cmp_ne_u32_e32 vcc_lo, 0, v17
	v_fmac_f16_e32 v19, v147, v12
	v_lshlrev_b32_e32 v9, v9, v20
	v_cndmask_b32_e64 v17, 0, 1, vcc_lo
	v_cmp_gt_i32_e32 vcc_lo, 31, v27
	v_and_or_b32 v29, 0x1ff, v11, v10
	v_cvt_f32_f16_e32 v19, v19
	v_bfe_u32 v30, v11, 20, 11
	v_lshl_or_b32 v17, v17, 9, 0x7c00
	v_cndmask_b32_e32 v7, 0x7c00, v7, vcc_lo
	v_cmp_ne_u32_e32 vcc_lo, v9, v25
	v_cvt_f64_f32_e32 v[9:10], v19
	v_cndmask_b32_e64 v25, 0, 1, vcc_lo
	v_cmp_ne_u32_e32 vcc_lo, 0, v29
	v_lshrrev_b32_e32 v29, 8, v11
	v_cndmask_b32_e64 v19, 0, 1, vcc_lo
	v_cmp_eq_u32_e32 vcc_lo, 0x40f, v27
	v_and_or_b32 v27, 0xffe, v29, v19
	v_cndmask_b32_e32 v7, v7, v17, vcc_lo
	v_sub_nc_u32_e32 v17, 0x3f1, v30
	v_or_b32_e32 v19, v20, v25
	v_lshl_or_b32 v20, v26, 12, v21
	v_cmp_gt_i32_e32 vcc_lo, 1, v26
	v_or_b32_e32 v25, 0x1000, v27
	v_med3_i32 v29, v17, 0, 13
	v_and_or_b32 v4, 0x8000, v18, v7
	v_mul_f64 v[17:18], v[9:10], s[2:3]
	v_cndmask_b32_e32 v19, v20, v19, vcc_lo
	v_mul_f16_sdwa v9, v147, v12 dst_sel:DWORD dst_unused:UNUSED_PAD src0_sel:WORD_1 src1_sel:DWORD
	v_lshrrev_b32_e32 v7, v29, v25
	v_lshl_or_b32 v2, v4, 16, v2
	v_add_nc_u32_e32 v12, 0xfffffc10, v30
	v_and_b32_e32 v20, 7, v19
	v_fma_f16 v9, v147, v28, -v9
	v_lshlrev_b32_e32 v4, v29, v7
	v_lshrrev_b32_e32 v10, 2, v19
	v_cmp_lt_i32_e32 vcc_lo, 5, v20
	v_cmp_eq_u32_e64 s0, 3, v20
	v_cmp_ne_u32_e64 s1, v4, v25
	v_cvt_f32_f16_e32 v9, v9
	s_or_b32 vcc_lo, s0, vcc_lo
	v_cndmask_b32_e64 v4, 0, 1, s1
	v_add_co_ci_u32_e32 v25, vcc_lo, 0, v10, vcc_lo
	v_cmp_ne_u32_e32 vcc_lo, 0, v21
	v_cvt_f64_f32_e32 v[19:20], v9
	v_or_b32_e32 v4, v7, v4
	v_lshl_or_b32 v7, v12, 12, v27
	ds_read2_b32 v[9:10], v14 offset0:32 offset1:49
	v_cndmask_b32_e64 v21, 0, 1, vcc_lo
	v_cmp_gt_i32_e32 vcc_lo, 1, v12
	v_bfe_u32 v28, v18, 20, 11
	v_cndmask_b32_e32 v4, v7, v4, vcc_lo
	v_and_or_b32 v7, 0x1ff, v18, v17
	v_cmp_gt_i32_e32 vcc_lo, 31, v26
	v_lshl_or_b32 v17, v21, 9, 0x7c00
	v_and_b32_e32 v21, 7, v4
	v_lshrrev_b32_e32 v4, 2, v4
	v_cndmask_b32_e32 v14, 0x7c00, v25, vcc_lo
	v_cmp_ne_u32_e32 vcc_lo, 0, v7
	v_lshrrev_b32_e32 v25, 8, v18
	v_cmp_eq_u32_e64 s0, 3, v21
	v_mul_f64 v[19:20], v[19:20], s[2:3]
	v_cndmask_b32_e64 v7, 0, 1, vcc_lo
	v_cmp_eq_u32_e32 vcc_lo, 0x40f, v26
	v_and_or_b32 v7, 0xffe, v25, v7
	v_cndmask_b32_e32 v14, v14, v17, vcc_lo
	v_cmp_lt_i32_e32 vcc_lo, 5, v21
	v_lshrrev_b32_e32 v17, 16, v22
	v_sub_nc_u32_e32 v22, 0x3f1, v28
	s_waitcnt lgkmcnt(0)
	v_lshrrev_b32_e32 v25, 16, v9
	v_or_b32_e32 v21, 0x1000, v7
	s_or_b32 vcc_lo, s0, vcc_lo
	v_and_or_b32 v14, 0x8000, v17, v14
	v_add_co_ci_u32_e32 v4, vcc_lo, 0, v4, vcc_lo
	v_med3_i32 v22, v22, 0, 13
	v_cmp_ne_u32_e32 vcc_lo, 0, v27
	v_mul_f16_sdwa v29, v146, v25 dst_sel:DWORD dst_unused:UNUSED_PAD src0_sel:WORD_1 src1_sel:DWORD
	v_add_nc_u32_e32 v28, 0xfffffc10, v28
	v_and_b32_e32 v14, 0xffff, v14
	v_lshrrev_b32_e32 v27, v22, v21
	v_cndmask_b32_e64 v26, 0, 1, vcc_lo
	v_cmp_gt_i32_e32 vcc_lo, 31, v12
	v_fmac_f16_e32 v29, v146, v9
	v_and_or_b32 v19, 0x1ff, v20, v19
	v_lshlrev_b32_e32 v17, v22, v27
	v_lshl_or_b32 v26, v26, 9, 0x7c00
	v_cndmask_b32_e32 v4, 0x7c00, v4, vcc_lo
	v_cmp_eq_u32_e32 vcc_lo, 0x40f, v12
	v_lshrrev_b32_e32 v22, 16, v11
	v_cvt_f32_f16_e32 v11, v29
	v_mul_f16_sdwa v9, v146, v9 dst_sel:DWORD dst_unused:UNUSED_PAD src0_sel:WORD_1 src1_sel:DWORD
	v_cndmask_b32_e32 v4, v4, v26, vcc_lo
	v_cmp_ne_u32_e32 vcc_lo, v17, v21
	v_cvt_f64_f32_e32 v[11:12], v11
	v_lshrrev_b32_e32 v21, 8, v20
	v_bfe_u32 v26, v20, 20, 11
	v_and_or_b32 v4, 0x8000, v22, v4
	v_cndmask_b32_e64 v17, 0, 1, vcc_lo
	v_cmp_ne_u32_e32 vcc_lo, 0, v19
	v_lshl_or_b32 v22, v28, 12, v7
	v_fma_f16 v9, v146, v25, -v9
	v_lshl_or_b32 v4, v4, 16, v14
	v_or_b32_e32 v17, v27, v17
	v_cndmask_b32_e64 v19, 0, 1, vcc_lo
	v_cmp_gt_i32_e32 vcc_lo, 1, v28
	v_cvt_f32_f16_e32 v9, v9
	v_lshrrev_b32_e32 v20, 16, v20
	v_and_or_b32 v19, 0xffe, v21, v19
	v_sub_nc_u32_e32 v21, 0x3f1, v26
	v_cndmask_b32_e32 v17, v22, v17, vcc_lo
	v_or_b32_e32 v27, 0x1000, v19
	v_med3_i32 v29, v21, 0, 13
	v_add_co_u32 v21, vcc_lo, v23, s7
	v_add_co_ci_u32_e32 v22, vcc_lo, s6, v24, vcc_lo
	v_and_b32_e32 v14, 7, v17
	v_mul_f64 v[11:12], v[11:12], s[2:3]
	v_lshrrev_b32_e32 v30, v29, v27
	v_add_co_u32 v23, vcc_lo, v21, s7
	v_add_co_ci_u32_e32 v24, vcc_lo, s6, v22, vcc_lo
	v_cmp_lt_i32_e32 vcc_lo, 5, v14
	v_cmp_eq_u32_e64 s0, 3, v14
	v_lshlrev_b32_e32 v25, v29, v30
	v_lshrrev_b32_e32 v14, 2, v17
	global_store_dword v[21:22], v2, off
	global_store_dword v[23:24], v4, off
	s_or_b32 vcc_lo, s0, vcc_lo
	v_cmp_ne_u32_e64 s1, v25, v27
	v_add_nc_u32_e32 v27, 0xfffffc10, v26
	v_cvt_f64_f32_e32 v[25:26], v9
	v_add_co_ci_u32_e32 v9, vcc_lo, 0, v14, vcc_lo
	v_cmp_ne_u32_e32 vcc_lo, 0, v7
	v_cndmask_b32_e64 v17, 0, 1, s1
	v_and_or_b32 v11, 0x1ff, v12, v11
	v_cndmask_b32_e64 v7, 0, 1, vcc_lo
	v_cmp_gt_i32_e32 vcc_lo, 31, v28
	v_or_b32_e32 v14, v30, v17
	v_lshl_or_b32 v17, v27, 12, v19
	v_bfe_u32 v29, v12, 20, 11
	v_lshl_or_b32 v7, v7, 9, 0x7c00
	v_cndmask_b32_e32 v9, 0x7c00, v9, vcc_lo
	v_cmp_gt_i32_e32 vcc_lo, 1, v27
	v_sub_nc_u32_e32 v30, 0x3f1, v29
	v_cndmask_b32_e32 v14, v17, v14, vcc_lo
	v_cmp_ne_u32_e32 vcc_lo, 0, v11
	v_lshrrev_b32_e32 v17, 8, v12
	v_cndmask_b32_e64 v11, 0, 1, vcc_lo
	v_cmp_eq_u32_e32 vcc_lo, 0x40f, v28
	v_lshrrev_b32_e32 v28, 16, v18
	v_and_or_b32 v11, 0xffe, v17, v11
	v_cndmask_b32_e32 v7, v9, v7, vcc_lo
	v_and_b32_e32 v9, 7, v14
	v_mul_f64 v[17:18], v[25:26], s[2:3]
	v_med3_i32 v25, v30, 0, 13
	v_lshrrev_b32_e32 v30, 16, v6
	v_and_or_b32 v7, 0x8000, v28, v7
	v_cmp_lt_i32_e32 vcc_lo, 5, v9
	v_cmp_eq_u32_e64 s0, 3, v9
	v_lshrrev_b32_e32 v9, 2, v14
	v_or_b32_e32 v14, 0x1000, v11
	v_mul_f16_sdwa v26, v145, v30 dst_sel:DWORD dst_unused:UNUSED_PAD src0_sel:WORD_1 src1_sel:DWORD
	v_and_b32_e32 v7, 0xffff, v7
	s_or_b32 vcc_lo, s0, vcc_lo
	v_add_co_ci_u32_e32 v9, vcc_lo, 0, v9, vcc_lo
	v_cmp_ne_u32_e32 vcc_lo, 0, v19
	v_lshrrev_b32_e32 v31, v25, v14
	v_fmac_f16_e32 v26, v145, v6
	v_mul_f16_sdwa v6, v145, v6 dst_sel:DWORD dst_unused:UNUSED_PAD src0_sel:WORD_1 src1_sel:DWORD
	v_cndmask_b32_e64 v19, 0, 1, vcc_lo
	v_cmp_gt_i32_e32 vcc_lo, 31, v27
	v_lshlrev_b32_e32 v25, v25, v31
	v_and_or_b32 v17, 0x1ff, v18, v17
	v_lshrrev_b32_e32 v28, 8, v18
	v_lshl_or_b32 v19, v19, 9, 0x7c00
	v_cndmask_b32_e32 v9, 0x7c00, v9, vcc_lo
	v_cmp_eq_u32_e32 vcc_lo, 0x40f, v27
	v_add_nc_u32_e32 v27, 0xfffffc10, v29
	v_bfe_u32 v29, v18, 20, 11
	v_fma_f16 v6, v145, v30, -v6
	v_cndmask_b32_e32 v9, v9, v19, vcc_lo
	v_cmp_ne_u32_e32 vcc_lo, v25, v14
	v_cvt_f32_f16_e32 v19, v26
	v_cvt_f32_f16_e32 v6, v6
	v_and_or_b32 v9, 0x8000, v20, v9
	v_cndmask_b32_e64 v14, 0, 1, vcc_lo
	v_cmp_ne_u32_e32 vcc_lo, 0, v17
	v_cvt_f64_f32_e32 v[25:26], v19
	v_lshl_or_b32 v19, v27, 12, v11
	v_lshl_or_b32 v4, v9, 16, v7
	v_or_b32_e32 v14, v31, v14
	v_cndmask_b32_e64 v17, 0, 1, vcc_lo
	v_cmp_gt_i32_e32 vcc_lo, 1, v27
	v_and_or_b32 v17, 0xffe, v28, v17
	v_sub_nc_u32_e32 v28, 0x3f1, v29
	v_cndmask_b32_e32 v14, v19, v14, vcc_lo
	v_or_b32_e32 v31, 0x1000, v17
	v_med3_i32 v19, v28, 0, 13
	v_and_b32_e32 v20, 7, v14
	v_lshrrev_b32_e32 v7, 2, v14
	v_add_nc_u32_e32 v14, 0xfffffc10, v29
	v_lshrrev_b32_e32 v2, v19, v31
	v_cmp_lt_i32_e32 vcc_lo, 5, v20
	v_cmp_eq_u32_e64 s0, 3, v20
	v_lshlrev_b32_e32 v9, v19, v2
	v_mul_f64 v[19:20], v[25:26], s[2:3]
	s_or_b32 vcc_lo, s0, vcc_lo
	v_lshrrev_b32_e32 v26, 16, v12
	v_add_co_ci_u32_e32 v7, vcc_lo, 0, v7, vcc_lo
	v_cmp_ne_u32_e32 vcc_lo, v9, v31
	v_cndmask_b32_e64 v9, 0, 1, vcc_lo
	v_cmp_ne_u32_e32 vcc_lo, 0, v11
	v_or_b32_e32 v2, v2, v9
	v_cndmask_b32_e64 v11, 0, 1, vcc_lo
	v_cmp_gt_i32_e32 vcc_lo, 31, v27
	v_lshl_or_b32 v9, v14, 12, v17
	v_lshl_or_b32 v11, v11, 9, 0x7c00
	v_cndmask_b32_e32 v25, 0x7c00, v7, vcc_lo
	v_cvt_f64_f32_e32 v[6:7], v6
	v_cmp_gt_i32_e32 vcc_lo, 1, v14
	v_and_or_b32 v19, 0x1ff, v20, v19
	v_cndmask_b32_e32 v2, v9, v2, vcc_lo
	v_add_co_u32 v21, vcc_lo, v23, s7
	v_add_co_ci_u32_e32 v22, vcc_lo, s6, v24, vcc_lo
	v_and_b32_e32 v9, 7, v2
	v_cmp_eq_u32_e32 vcc_lo, 0x40f, v27
	v_cmp_ne_u32_e64 s0, 0, v19
	v_lshrrev_b32_e32 v2, 2, v2
	v_lshrrev_b32_e32 v23, 8, v20
	v_bfe_u32 v27, v20, 20, 11
	v_cndmask_b32_e32 v25, v25, v11, vcc_lo
	v_cmp_lt_i32_e32 vcc_lo, 5, v9
	v_cndmask_b32_e64 v19, 0, 1, s0
	v_cmp_eq_u32_e64 s0, 3, v9
	ds_read2_b32 v[11:12], v129 offset0:136 offset1:153
	v_mul_f64 v[6:7], v[6:7], s[2:3]
	v_and_or_b32 v26, 0x8000, v26, v25
	v_and_or_b32 v9, 0xffe, v23, v19
	s_or_b32 vcc_lo, s0, vcc_lo
	v_sub_nc_u32_e32 v19, 0x3f1, v27
	v_add_co_ci_u32_e32 v2, vcc_lo, 0, v2, vcc_lo
	v_cmp_ne_u32_e32 vcc_lo, 0, v17
	v_or_b32_e32 v28, 0x1000, v9
	v_med3_i32 v19, v19, 0, 13
	v_mad_u64_u32 v[23:24], null, s4, v143, 0
	v_cndmask_b32_e64 v17, 0, 1, vcc_lo
	v_cmp_gt_i32_e32 vcc_lo, 31, v14
	v_lshrrev_b32_e32 v29, v19, v28
	v_add_nc_u32_e32 v27, 0xfffffc10, v27
	global_store_dword v[21:22], v4, off
	v_lshl_or_b32 v17, v17, 9, 0x7c00
	v_cndmask_b32_e32 v2, 0x7c00, v2, vcc_lo
	v_cmp_eq_u32_e32 vcc_lo, 0x40f, v14
	s_waitcnt lgkmcnt(0)
	v_lshrrev_b32_e32 v30, 16, v11
	v_lshl_or_b32 v31, v27, 12, v9
	v_and_or_b32 v6, 0x1ff, v7, v6
	v_lshrrev_b32_e32 v20, 16, v20
	v_cndmask_b32_e32 v14, v2, v17, vcc_lo
	v_lshlrev_b32_e32 v17, v19, v29
	v_lshrrev_b32_e32 v19, 16, v18
	v_mul_f16_sdwa v18, v144, v30 dst_sel:DWORD dst_unused:UNUSED_PAD src0_sel:WORD_1 src1_sel:DWORD
	v_mov_b32_e32 v2, v24
	v_lshrrev_b32_e32 v24, 8, v7
	v_cmp_ne_u32_e32 vcc_lo, v17, v28
	v_bfe_u32 v28, v7, 20, 11
	v_fmac_f16_e32 v18, v144, v11
	v_and_or_b32 v4, 0x8000, v19, v14
	v_and_b32_e32 v14, 0xffff, v26
	v_cndmask_b32_e64 v17, 0, 1, vcc_lo
	v_cmp_ne_u32_e32 vcc_lo, 0, v6
	v_cvt_f32_f16_e32 v18, v18
	v_sub_nc_u32_e32 v32, 0x3f1, v28
	v_lshl_or_b32 v4, v4, 16, v14
	v_or_b32_e32 v29, v29, v17
	v_cndmask_b32_e64 v6, 0, 1, vcc_lo
	v_cvt_f64_f32_e32 v[17:18], v18
	v_cmp_gt_i32_e32 vcc_lo, 1, v27
	v_mul_f16_sdwa v11, v144, v11 dst_sel:DWORD dst_unused:UNUSED_PAD src0_sel:WORD_1 src1_sel:DWORD
	v_add_nc_u32_e32 v28, 0xfffffc10, v28
	v_and_or_b32 v6, 0xffe, v24, v6
	v_mad_u64_u32 v[24:25], null, s5, v143, v[2:3]
	v_med3_i32 v25, v32, 0, 13
	v_cndmask_b32_e32 v29, v31, v29, vcc_lo
	v_or_b32_e32 v2, 0x1000, v6
	v_fma_f16 v11, v144, v30, -v11
	v_and_b32_e32 v26, 7, v29
	v_lshrrev_b32_e32 v19, v25, v2
	v_cvt_f32_f16_e32 v11, v11
	v_lshlrev_b64 v[23:24], 2, v[23:24]
	v_cmp_lt_i32_e32 vcc_lo, 5, v26
	v_lshlrev_b32_e32 v14, v25, v19
	v_cmp_eq_u32_e64 s0, 3, v26
	v_lshrrev_b32_e32 v25, 2, v29
	v_mul_f64 v[17:18], v[17:18], s[2:3]
	v_cmp_ne_u32_e64 s1, v14, v2
	s_or_b32 vcc_lo, s0, vcc_lo
	v_add_co_ci_u32_e32 v14, vcc_lo, 0, v25, vcc_lo
	v_cndmask_b32_e64 v2, 0, 1, s1
	v_cmp_ne_u32_e32 vcc_lo, 0, v9
	v_cvt_f64_f32_e32 v[25:26], v11
	v_or_b32_e32 v2, v19, v2
	v_lshl_or_b32 v19, v28, 12, v6
	v_cndmask_b32_e64 v9, 0, 1, vcc_lo
	v_cmp_gt_i32_e32 vcc_lo, 1, v28
	v_lshl_or_b32 v9, v9, 9, 0x7c00
	v_cndmask_b32_e32 v2, v19, v2, vcc_lo
	v_cmp_gt_i32_e32 vcc_lo, 31, v27
	v_and_b32_e32 v19, 7, v2
	v_cndmask_b32_e32 v11, 0x7c00, v14, vcc_lo
	v_add_co_u32 v14, vcc_lo, v15, v23
	v_add_co_ci_u32_e32 v15, vcc_lo, v16, v24, vcc_lo
	v_and_or_b32 v16, 0x1ff, v18, v17
	v_cmp_eq_u32_e32 vcc_lo, 0x40f, v27
	v_cmp_eq_u32_e64 s0, 3, v19
	v_lshrrev_b32_e32 v2, 2, v2
	v_bfe_u32 v23, v18, 20, 11
	v_cmp_ne_u32_e64 s1, 0, v16
	v_cndmask_b32_e32 v9, v11, v9, vcc_lo
	v_cmp_lt_i32_e32 vcc_lo, 5, v19
	v_lshrrev_b32_e32 v19, 8, v18
	v_mul_f64 v[16:17], v[25:26], s[2:3]
	v_cndmask_b32_e64 v11, 0, 1, s1
	v_lshrrev_b32_e32 v24, 16, v8
	s_or_b32 vcc_lo, s0, vcc_lo
	v_and_or_b32 v9, 0x8000, v20, v9
	v_add_co_ci_u32_e32 v2, vcc_lo, 0, v2, vcc_lo
	v_and_or_b32 v11, 0xffe, v19, v11
	v_sub_nc_u32_e32 v19, 0x3f1, v23
	v_cmp_ne_u32_e32 vcc_lo, 0, v6
	v_mul_f16_sdwa v26, v142, v24 dst_sel:DWORD dst_unused:UNUSED_PAD src0_sel:WORD_1 src1_sel:DWORD
	v_add_nc_u32_e32 v23, 0xfffffc10, v23
	v_or_b32_e32 v25, 0x1000, v11
	v_med3_i32 v19, v19, 0, 13
	v_cndmask_b32_e64 v6, 0, 1, vcc_lo
	v_cmp_gt_i32_e32 vcc_lo, 31, v28
	v_fmac_f16_e32 v26, v142, v8
	v_and_b32_e32 v9, 0xffff, v9
	v_lshrrev_b32_e32 v27, v19, v25
	v_lshl_or_b32 v6, v6, 9, 0x7c00
	v_cndmask_b32_e32 v2, 0x7c00, v2, vcc_lo
	v_cmp_eq_u32_e32 vcc_lo, 0x40f, v28
	v_and_or_b32 v16, 0x1ff, v17, v16
	v_lshl_or_b32 v28, v23, 12, v11
	s_mul_i32 s0, s5, 0xfffff9a0
	v_lshrrev_b32_e32 v18, 16, v18
	v_cndmask_b32_e32 v2, v2, v6, vcc_lo
	v_lshrrev_b32_e32 v6, 16, v7
	v_lshlrev_b32_e32 v7, v19, v27
	v_cvt_f32_f16_e32 v19, v26
	s_sub_i32 s0, s0, s4
	v_and_or_b32 v2, 0x8000, v6, v2
	v_cmp_ne_u32_e32 vcc_lo, v7, v25
	v_cvt_f64_f32_e32 v[6:7], v19
	v_lshrrev_b32_e32 v19, 8, v17
	v_bfe_u32 v25, v17, 20, 11
	v_lshl_or_b32 v2, v2, 16, v9
	v_cndmask_b32_e64 v20, 0, 1, vcc_lo
	v_cmp_ne_u32_e32 vcc_lo, 0, v16
	v_or_b32_e32 v26, v27, v20
	v_cndmask_b32_e64 v16, 0, 1, vcc_lo
	v_sub_nc_u32_e32 v27, 0x3f1, v25
	v_cmp_gt_i32_e32 vcc_lo, 1, v23
	v_and_or_b32 v16, 0xffe, v19, v16
	v_med3_i32 v27, v27, 0, 13
	v_cndmask_b32_e32 v26, v28, v26, vcc_lo
	v_mad_u64_u32 v[19:20], null, 0xfffff9a0, s4, v[21:22]
	v_or_b32_e32 v29, 0x1000, v16
	v_and_b32_e32 v28, 7, v26
	v_mul_f64 v[21:22], v[6:7], s[2:3]
	v_mul_f16_sdwa v6, v142, v8 dst_sel:DWORD dst_unused:UNUSED_PAD src0_sel:WORD_1 src1_sel:DWORD
	v_lshrrev_b32_e32 v9, v27, v29
	v_add_nc_u32_e32 v20, s0, v20
	v_cmp_lt_i32_e32 vcc_lo, 5, v28
	v_cmp_eq_u32_e64 s0, 3, v28
	v_fma_f16 v6, v142, v24, -v6
	v_lshlrev_b32_e32 v7, v27, v9
	v_lshrrev_b32_e32 v8, 2, v26
	v_add_nc_u32_e32 v24, 0xfffffc10, v25
	s_or_b32 vcc_lo, s0, vcc_lo
	v_cvt_f32_f16_e32 v6, v6
	v_cmp_ne_u32_e64 s1, v7, v29
	v_add_co_ci_u32_e32 v25, vcc_lo, 0, v8, vcc_lo
	v_cmp_ne_u32_e32 vcc_lo, 0, v11
	v_lshl_or_b32 v27, v24, 12, v16
	v_cndmask_b32_e64 v7, 0, 1, s1
	v_cndmask_b32_e64 v11, 0, 1, vcc_lo
	v_cmp_gt_i32_e32 vcc_lo, 1, v24
	v_or_b32_e32 v26, v9, v7
	v_cvt_f64_f32_e32 v[8:9], v6
	v_and_or_b32 v21, 0x1ff, v22, v21
	ds_read2_b32 v[6:7], v13 offset0:50 offset1:67
	v_lshl_or_b32 v11, v11, 9, 0x7c00
	v_cndmask_b32_e32 v26, v27, v26, vcc_lo
	v_cmp_gt_i32_e32 vcc_lo, 31, v23
	v_lshrrev_b32_e32 v28, 8, v22
	v_bfe_u32 v29, v22, 20, 11
	global_store_dword v[14:15], v4, off
	global_store_dword v[19:20], v2, off
	v_and_b32_e32 v27, 7, v26
	v_cndmask_b32_e32 v25, 0x7c00, v25, vcc_lo
	v_cmp_ne_u32_e32 vcc_lo, 0, v21
	v_lshrrev_b32_e32 v26, 2, v26
	v_cmp_eq_u32_e64 s0, 3, v27
	v_cndmask_b32_e64 v21, 0, 1, vcc_lo
	v_cmp_eq_u32_e32 vcc_lo, 0x40f, v23
	v_sub_nc_u32_e32 v23, 0x3f1, v29
	v_and_or_b32 v21, 0xffe, v28, v21
	v_cndmask_b32_e32 v11, v25, v11, vcc_lo
	v_cmp_lt_i32_e32 vcc_lo, 5, v27
	v_mul_f64 v[8:9], v[8:9], s[2:3]
	v_med3_i32 v23, v23, 0, 13
	v_or_b32_e32 v27, 0x1000, v21
	s_waitcnt lgkmcnt(0)
	v_lshrrev_b32_e32 v25, 16, v6
	s_or_b32 vcc_lo, s0, vcc_lo
	v_and_or_b32 v11, 0x8000, v18, v11
	v_add_co_ci_u32_e32 v26, vcc_lo, 0, v26, vcc_lo
	v_cmp_ne_u32_e32 vcc_lo, 0, v16
	v_lshrrev_b32_e32 v30, v23, v27
	v_mul_f16_sdwa v28, v141, v25 dst_sel:DWORD dst_unused:UNUSED_PAD src0_sel:WORD_1 src1_sel:DWORD
	v_and_b32_e32 v11, 0xffff, v11
	v_cndmask_b32_e64 v16, 0, 1, vcc_lo
	v_cmp_gt_i32_e32 vcc_lo, 31, v24
	v_lshlrev_b32_e32 v18, v23, v30
	v_fmac_f16_e32 v28, v141, v6
	v_mul_f16_sdwa v6, v141, v6 dst_sel:DWORD dst_unused:UNUSED_PAD src0_sel:WORD_1 src1_sel:DWORD
	v_lshl_or_b32 v16, v16, 9, 0x7c00
	v_cndmask_b32_e32 v26, 0x7c00, v26, vcc_lo
	v_cmp_eq_u32_e32 vcc_lo, 0x40f, v24
	v_cvt_f32_f16_e32 v23, v28
	v_and_or_b32 v8, 0x1ff, v9, v8
	v_bfe_u32 v28, v9, 20, 11
	v_cndmask_b32_e32 v24, v26, v16, vcc_lo
	v_cmp_ne_u32_e32 vcc_lo, v18, v27
	v_lshrrev_b32_e32 v26, 16, v17
	v_cvt_f64_f32_e32 v[16:17], v23
	v_add_nc_u32_e32 v23, 0xfffffc10, v29
	v_lshrrev_b32_e32 v27, 8, v9
	v_cndmask_b32_e64 v18, 0, 1, vcc_lo
	v_cmp_ne_u32_e32 vcc_lo, 0, v8
	v_and_or_b32 v24, 0x8000, v26, v24
	v_lshl_or_b32 v26, v23, 12, v21
	v_or_b32_e32 v18, v30, v18
	v_cndmask_b32_e64 v8, 0, 1, vcc_lo
	v_cmp_gt_i32_e32 vcc_lo, 1, v23
	v_lshl_or_b32 v2, v24, 16, v11
	v_and_or_b32 v8, 0xffe, v27, v8
	v_sub_nc_u32_e32 v27, 0x3f1, v28
	v_cndmask_b32_e32 v18, v26, v18, vcc_lo
	v_or_b32_e32 v26, 0x1000, v8
	v_med3_i32 v27, v27, 0, 13
	v_and_b32_e32 v4, 7, v18
	v_mul_f64 v[14:15], v[16:17], s[2:3]
	v_add_co_u32 v16, vcc_lo, v19, s7
	v_lshrrev_b32_e32 v11, v27, v26
	v_add_co_ci_u32_e32 v17, vcc_lo, s6, v20, vcc_lo
	v_cmp_lt_i32_e32 vcc_lo, 5, v4
	v_cmp_eq_u32_e64 s0, 3, v4
	v_lshlrev_b32_e32 v19, v27, v11
	v_fma_f16 v4, v141, v25, -v6
	v_lshrrev_b32_e32 v6, 2, v18
	v_add_nc_u32_e32 v20, 0xfffffc10, v28
	s_or_b32 vcc_lo, s0, vcc_lo
	v_cmp_ne_u32_e64 s1, v19, v26
	v_cvt_f32_f16_e32 v4, v4
	v_add_co_ci_u32_e32 v6, vcc_lo, 0, v6, vcc_lo
	v_cmp_ne_u32_e32 vcc_lo, 0, v21
	v_cndmask_b32_e64 v18, 0, 1, s1
	v_lshl_or_b32 v24, v20, 12, v8
	global_store_dword v[16:17], v2, off
	v_add_co_u32 v16, s1, v16, s7
	v_or_b32_e32 v11, v11, v18
	v_cvt_f64_f32_e32 v[18:19], v4
	v_cndmask_b32_e64 v4, 0, 1, vcc_lo
	v_cmp_gt_i32_e32 vcc_lo, 1, v20
	v_and_or_b32 v14, 0x1ff, v15, v14
	v_bfe_u32 v25, v15, 20, 11
	v_add_co_ci_u32_e64 v17, s1, s6, v17, s1
	v_cndmask_b32_e32 v11, v24, v11, vcc_lo
	v_cmp_gt_i32_e32 vcc_lo, 31, v23
	v_lshl_or_b32 v4, v4, 9, 0x7c00
	v_lshrrev_b32_e32 v24, 8, v15
	v_lshrrev_b32_e32 v15, 16, v15
	v_and_b32_e32 v21, 7, v11
	v_cndmask_b32_e32 v6, 0x7c00, v6, vcc_lo
	v_cmp_ne_u32_e32 vcc_lo, 0, v14
	v_lshrrev_b32_e32 v11, 2, v11
	v_cmp_eq_u32_e64 s0, 3, v21
	v_cndmask_b32_e64 v14, 0, 1, vcc_lo
	v_cmp_eq_u32_e32 vcc_lo, 0x40f, v23
	v_lshrrev_b32_e32 v23, 16, v5
	v_mul_f64 v[18:19], v[18:19], s[2:3]
	v_and_or_b32 v14, 0xffe, v24, v14
	v_cndmask_b32_e32 v4, v6, v4, vcc_lo
	v_cmp_lt_i32_e32 vcc_lo, 5, v21
	v_lshrrev_b32_e32 v6, 16, v22
	v_sub_nc_u32_e32 v22, 0x3f1, v25
	v_or_b32_e32 v21, 0x1000, v14
	v_mul_f16_sdwa v24, v139, v23 dst_sel:DWORD dst_unused:UNUSED_PAD src0_sel:WORD_1 src1_sel:DWORD
	s_or_b32 vcc_lo, s0, vcc_lo
	v_and_or_b32 v4, 0x8000, v6, v4
	v_add_co_ci_u32_e32 v11, vcc_lo, 0, v11, vcc_lo
	v_med3_i32 v22, v22, 0, 13
	v_cmp_ne_u32_e32 vcc_lo, 0, v8
	v_fmac_f16_e32 v24, v139, v5
	v_and_b32_e32 v4, 0xffff, v4
	v_lshrrev_b32_e32 v26, v22, v21
	v_cndmask_b32_e64 v8, 0, 1, vcc_lo
	v_cmp_gt_i32_e32 vcc_lo, 31, v20
	v_and_or_b32 v18, 0x1ff, v19, v18
	v_lshlrev_b32_e32 v22, v22, v26
	v_lshl_or_b32 v8, v8, 9, 0x7c00
	v_cndmask_b32_e32 v11, 0x7c00, v11, vcc_lo
	v_cmp_eq_u32_e32 vcc_lo, 0x40f, v20
	v_lshrrev_b32_e32 v20, 16, v9
	v_cndmask_b32_e32 v6, v11, v8, vcc_lo
	v_cmp_ne_u32_e32 vcc_lo, v22, v21
	v_add_nc_u32_e32 v22, 0xfffffc10, v25
	v_cvt_f32_f16_e32 v8, v24
	v_lshrrev_b32_e32 v24, 8, v19
	v_bfe_u32 v25, v19, 20, 11
	v_cndmask_b32_e64 v11, 0, 1, vcc_lo
	v_cmp_ne_u32_e32 vcc_lo, 0, v18
	v_lshl_or_b32 v21, v22, 12, v14
	v_cvt_f64_f32_e32 v[8:9], v8
	v_and_or_b32 v6, 0x8000, v20, v6
	v_or_b32_e32 v11, v26, v11
	v_cndmask_b32_e64 v18, 0, 1, vcc_lo
	v_cmp_gt_i32_e32 vcc_lo, 1, v22
	v_sub_nc_u32_e32 v20, 0x3f1, v25
	v_lshl_or_b32 v6, v6, 16, v4
	v_mul_f16_sdwa v4, v139, v5 dst_sel:DWORD dst_unused:UNUSED_PAD src0_sel:WORD_1 src1_sel:DWORD
	v_and_or_b32 v18, 0xffe, v24, v18
	v_cndmask_b32_e32 v11, v21, v11, vcc_lo
	v_med3_i32 v20, v20, 0, 13
	global_store_dword v[16:17], v6, off
	v_fma_f16 v4, v139, v23, -v4
	v_or_b32_e32 v24, 0x1000, v18
	v_and_b32_e32 v2, 7, v11
	v_lshrrev_b32_e32 v5, 2, v11
	v_cvt_f32_f16_e32 v4, v4
	v_cmp_lt_i32_e32 vcc_lo, 5, v2
	v_cmp_eq_u32_e64 s0, 3, v2
	v_lshrrev_b32_e32 v2, v20, v24
	v_mul_f64 v[8:9], v[8:9], s[2:3]
	s_or_b32 vcc_lo, s0, vcc_lo
	v_lshlrev_b32_e32 v11, v20, v2
	v_add_co_ci_u32_e32 v23, vcc_lo, 0, v5, vcc_lo
	v_cvt_f64_f32_e32 v[20:21], v4
	ds_read2_b32 v[4:5], v13 offset0:220 offset1:237
	v_cmp_ne_u32_e32 vcc_lo, v11, v24
	v_add_nc_u32_e32 v24, 0xfffffc10, v25
	v_cndmask_b32_e64 v11, 0, 1, vcc_lo
	v_cmp_ne_u32_e32 vcc_lo, 0, v14
	v_or_b32_e32 v2, v2, v11
	v_cndmask_b32_e64 v13, 0, 1, vcc_lo
	v_cmp_gt_i32_e32 vcc_lo, 31, v22
	v_lshl_or_b32 v11, v24, 12, v18
	v_and_or_b32 v8, 0x1ff, v9, v8
	v_lshl_or_b32 v13, v13, 9, 0x7c00
	v_cndmask_b32_e32 v14, 0x7c00, v23, vcc_lo
	v_cmp_gt_i32_e32 vcc_lo, 1, v24
	v_bfe_u32 v23, v9, 20, 11
	s_waitcnt lgkmcnt(0)
	v_lshrrev_b32_e32 v25, 16, v4
	v_cndmask_b32_e32 v2, v11, v2, vcc_lo
	v_cmp_eq_u32_e32 vcc_lo, 0x40f, v22
	v_lshrrev_b32_e32 v22, 8, v9
	v_lshrrev_b32_e32 v9, 16, v9
	v_and_b32_e32 v11, 7, v2
	v_cndmask_b32_e32 v6, v14, v13, vcc_lo
	v_cmp_ne_u32_e32 vcc_lo, 0, v8
	v_mul_f64 v[13:14], v[20:21], s[2:3]
	v_sub_nc_u32_e32 v20, 0x3f1, v23
	v_cmp_eq_u32_e64 s0, 3, v11
	v_lshrrev_b32_e32 v2, 2, v2
	v_cndmask_b32_e64 v8, 0, 1, vcc_lo
	v_cmp_lt_i32_e32 vcc_lo, 5, v11
	v_mul_f16_sdwa v21, v138, v25 dst_sel:DWORD dst_unused:UNUSED_PAD src0_sel:WORD_1 src1_sel:DWORD
	v_med3_i32 v20, v20, 0, 13
	v_and_or_b32 v6, 0x8000, v15, v6
	v_and_or_b32 v8, 0xffe, v22, v8
	s_or_b32 vcc_lo, s0, vcc_lo
	v_fmac_f16_e32 v21, v138, v4
	v_add_co_ci_u32_e32 v2, vcc_lo, 0, v2, vcc_lo
	v_or_b32_e32 v11, 0x1000, v8
	v_cmp_gt_i32_e32 vcc_lo, 31, v24
	v_cvt_f32_f16_e32 v15, v21
	v_add_nc_u32_e32 v23, 0xfffffc10, v23
	v_mul_f16_sdwa v4, v138, v4 dst_sel:DWORD dst_unused:UNUSED_PAD src0_sel:WORD_1 src1_sel:DWORD
	v_lshrrev_b32_e32 v22, v20, v11
	v_cndmask_b32_e32 v2, 0x7c00, v2, vcc_lo
	v_cmp_ne_u32_e32 vcc_lo, 0, v18
	v_and_or_b32 v13, 0x1ff, v14, v13
	v_lshrrev_b32_e32 v18, 8, v14
	v_lshlrev_b32_e32 v26, v20, v22
	v_cvt_f64_f32_e32 v[20:21], v15
	v_cndmask_b32_e64 v15, 0, 1, vcc_lo
	v_fma_f16 v4, v138, v25, -v4
	v_and_b32_e32 v6, 0xffff, v6
	v_cmp_ne_u32_e32 vcc_lo, v26, v11
	v_bfe_u32 v26, v14, 20, 11
	v_lshl_or_b32 v15, v15, 9, 0x7c00
	v_cvt_f32_f16_e32 v4, v4
	v_lshrrev_b32_e32 v14, 16, v14
	v_cndmask_b32_e64 v11, 0, 1, vcc_lo
	v_cmp_ne_u32_e32 vcc_lo, 0, v13
	v_or_b32_e32 v11, v22, v11
	v_cndmask_b32_e64 v13, 0, 1, vcc_lo
	v_cmp_eq_u32_e32 vcc_lo, 0x40f, v24
	v_lshl_or_b32 v22, v23, 12, v8
	v_and_or_b32 v13, 0xffe, v18, v13
	v_cndmask_b32_e32 v2, v2, v15, vcc_lo
	v_cmp_gt_i32_e32 vcc_lo, 1, v23
	v_sub_nc_u32_e32 v18, 0x3f1, v26
	v_or_b32_e32 v15, 0x1000, v13
	v_cndmask_b32_e32 v11, v22, v11, vcc_lo
	v_med3_i32 v24, v18, 0, 13
	v_lshrrev_b32_e32 v22, 16, v19
	v_mul_f64 v[18:19], v[20:21], s[2:3]
	v_and_b32_e32 v20, 7, v11
	v_lshrrev_b32_e32 v27, v24, v15
	v_lshrrev_b32_e32 v11, 2, v11
	v_and_or_b32 v2, 0x8000, v22, v2
	v_add_nc_u32_e32 v22, 0xfffffc10, v26
	v_cmp_lt_i32_e32 vcc_lo, 5, v20
	v_cmp_eq_u32_e64 s0, 3, v20
	v_lshlrev_b32_e32 v21, v24, v27
	v_lshrrev_b32_e32 v24, 16, v10
	v_lshl_or_b32 v6, v2, 16, v6
	s_or_b32 vcc_lo, s0, vcc_lo
	v_cmp_ne_u32_e64 s1, v21, v15
	v_cvt_f64_f32_e32 v[20:21], v4
	v_add_co_ci_u32_e32 v4, vcc_lo, 0, v11, vcc_lo
	v_cmp_ne_u32_e32 vcc_lo, 0, v8
	v_cndmask_b32_e64 v15, 0, 1, s1
	v_mul_f16_sdwa v25, v137, v24 dst_sel:DWORD dst_unused:UNUSED_PAD src0_sel:WORD_1 src1_sel:DWORD
	v_and_or_b32 v18, 0x1ff, v19, v18
	v_cndmask_b32_e64 v8, 0, 1, vcc_lo
	v_cmp_gt_i32_e32 vcc_lo, 31, v23
	v_or_b32_e32 v11, v27, v15
	v_lshl_or_b32 v15, v22, 12, v13
	v_fmac_f16_e32 v25, v137, v10
	v_lshl_or_b32 v8, v8, 9, 0x7c00
	v_cndmask_b32_e32 v4, 0x7c00, v4, vcc_lo
	v_cmp_gt_i32_e32 vcc_lo, 1, v22
	v_cndmask_b32_e32 v11, v15, v11, vcc_lo
	v_cmp_ne_u32_e32 vcc_lo, 0, v18
	v_lshrrev_b32_e32 v18, 8, v19
	v_mul_f64 v[20:21], v[20:21], s[2:3]
	v_cndmask_b32_e64 v15, 0, 1, vcc_lo
	v_cmp_eq_u32_e32 vcc_lo, 0x40f, v23
	v_bfe_u32 v23, v19, 20, 11
	v_lshrrev_b32_e32 v19, 16, v19
	v_and_or_b32 v15, 0xffe, v18, v15
	v_cndmask_b32_e32 v4, v4, v8, vcc_lo
	v_and_b32_e32 v8, 7, v11
	v_sub_nc_u32_e32 v18, 0x3f1, v23
	v_add_nc_u32_e32 v23, 0xfffffc10, v23
	v_or_b32_e32 v26, 0x1000, v15
	v_and_or_b32 v4, 0x8000, v9, v4
	v_cmp_lt_i32_e32 vcc_lo, 5, v8
	v_cmp_eq_u32_e64 s0, 3, v8
	v_lshrrev_b32_e32 v8, 2, v11
	v_med3_i32 v18, v18, 0, 13
	v_cvt_f32_f16_e32 v9, v25
	v_and_b32_e32 v4, 0xffff, v4
	s_or_b32 vcc_lo, s0, vcc_lo
	v_and_or_b32 v20, 0x1ff, v21, v20
	v_add_co_ci_u32_e32 v25, vcc_lo, 0, v8, vcc_lo
	v_lshrrev_b32_e32 v11, v18, v26
	v_cmp_ne_u32_e32 vcc_lo, 0, v13
	v_cvt_f64_f32_e32 v[8:9], v9
	v_bfe_u32 v27, v21, 20, 11
	v_lshlrev_b32_e32 v18, v18, v11
	v_cndmask_b32_e64 v13, 0, 1, vcc_lo
	v_cmp_gt_i32_e32 vcc_lo, 31, v22
	v_lshl_or_b32 v13, v13, 9, 0x7c00
	v_cndmask_b32_e32 v25, 0x7c00, v25, vcc_lo
	v_cmp_ne_u32_e32 vcc_lo, v18, v26
	v_lshrrev_b32_e32 v26, 8, v21
	v_cndmask_b32_e64 v18, 0, 1, vcc_lo
	v_cmp_ne_u32_e32 vcc_lo, 0, v20
	v_or_b32_e32 v11, v11, v18
	v_cndmask_b32_e64 v20, 0, 1, vcc_lo
	v_cmp_eq_u32_e32 vcc_lo, 0x40f, v22
	v_mul_f64 v[8:9], v[8:9], s[2:3]
	v_lshl_or_b32 v18, v23, 12, v15
	v_sub_nc_u32_e32 v22, 0x3f1, v27
	v_and_or_b32 v20, 0xffe, v26, v20
	v_cndmask_b32_e32 v13, v25, v13, vcc_lo
	v_cmp_gt_i32_e32 vcc_lo, 1, v23
	v_med3_i32 v22, v22, 0, 13
	v_or_b32_e32 v25, 0x1000, v20
	v_and_or_b32 v2, 0x8000, v14, v13
	v_cndmask_b32_e32 v18, v18, v11, vcc_lo
	v_mul_f16_sdwa v14, v137, v10 dst_sel:DWORD dst_unused:UNUSED_PAD src0_sel:WORD_1 src1_sel:DWORD
	v_add_co_u32 v10, vcc_lo, v16, s7
	v_lshrrev_b32_e32 v26, v22, v25
	v_and_b32_e32 v13, 7, v18
	v_fma_f16 v14, v137, v24, -v14
	v_add_co_ci_u32_e32 v11, vcc_lo, s6, v17, vcc_lo
	v_lshrrev_b32_e32 v16, 2, v18
	v_cmp_lt_i32_e32 vcc_lo, 5, v13
	v_cmp_eq_u32_e64 s0, 3, v13
	v_cvt_f32_f16_e32 v13, v14
	v_lshl_or_b32 v4, v2, 16, v4
	v_lshlrev_b32_e32 v2, v22, v26
	v_and_or_b32 v8, 0x1ff, v9, v8
	s_or_b32 vcc_lo, s0, vcc_lo
	v_cvt_f64_f32_e32 v[13:14], v13
	v_add_co_ci_u32_e32 v16, vcc_lo, 0, v16, vcc_lo
	v_cmp_ne_u32_e64 s1, v2, v25
	v_cmp_ne_u32_e32 vcc_lo, 0, v8
	v_add_nc_u32_e32 v22, 0xfffffc10, v27
	v_lshrrev_b32_e32 v18, 8, v9
	v_bfe_u32 v24, v9, 20, 11
	v_cndmask_b32_e64 v2, 0, 1, s1
	v_cndmask_b32_e64 v8, 0, 1, vcc_lo
	v_cmp_ne_u32_e32 vcc_lo, 0, v15
	v_lshl_or_b32 v17, v22, 12, v20
	v_lshrrev_b32_e32 v9, 16, v9
	v_or_b32_e32 v2, v26, v2
	v_and_or_b32 v8, 0xffe, v18, v8
	v_cndmask_b32_e64 v15, 0, 1, vcc_lo
	v_cmp_gt_i32_e32 vcc_lo, 1, v22
	global_store_dword v[10:11], v6, off
	v_or_b32_e32 v25, 0x1000, v8
	v_lshl_or_b32 v15, v15, 9, 0x7c00
	v_cndmask_b32_e32 v2, v17, v2, vcc_lo
	v_cmp_gt_i32_e32 vcc_lo, 31, v23
	v_sub_nc_u32_e32 v17, 0x3f1, v24
	v_mul_f64 v[13:14], v[13:14], s[2:3]
	v_add_nc_u32_e32 v24, 0xfffffc10, v24
	v_and_b32_e32 v18, 7, v2
	v_cndmask_b32_e32 v16, 0x7c00, v16, vcc_lo
	v_med3_i32 v17, v17, 0, 13
	v_cmp_eq_u32_e32 vcc_lo, 0x40f, v23
	v_lshrrev_b32_e32 v2, 2, v2
	v_cmp_eq_u32_e64 s0, 3, v18
	v_cndmask_b32_e32 v23, v16, v15, vcc_lo
	v_cmp_lt_i32_e32 vcc_lo, 5, v18
	v_lshrrev_b32_e32 v18, v17, v25
	v_add_co_u32 v15, s1, v10, s7
	v_and_or_b32 v19, 0x8000, v19, v23
	s_or_b32 vcc_lo, s0, vcc_lo
	v_lshlrev_b32_e32 v17, v17, v18
	v_add_co_ci_u32_e32 v2, vcc_lo, 0, v2, vcc_lo
	v_lshrrev_b32_e32 v23, 16, v3
	v_add_co_ci_u32_e64 v16, s1, s6, v11, s1
	v_cmp_ne_u32_e32 vcc_lo, v17, v25
	v_and_or_b32 v13, 0x1ff, v14, v13
	v_mul_f16_sdwa v25, v136, v23 dst_sel:DWORD dst_unused:UNUSED_PAD src0_sel:WORD_1 src1_sel:DWORD
	v_lshrrev_b32_e32 v26, 8, v14
	v_bfe_u32 v27, v14, 20, 11
	v_cndmask_b32_e64 v17, 0, 1, vcc_lo
	v_cmp_ne_u32_e32 vcc_lo, 0, v20
	v_fmac_f16_e32 v25, v136, v3
	v_mul_f16_sdwa v3, v136, v3 dst_sel:DWORD dst_unused:UNUSED_PAD src0_sel:WORD_1 src1_sel:DWORD
	v_and_b32_e32 v19, 0xffff, v19
	v_or_b32_e32 v17, v18, v17
	v_cndmask_b32_e64 v20, 0, 1, vcc_lo
	v_cmp_ne_u32_e32 vcc_lo, 0, v13
	v_lshl_or_b32 v18, v24, 12, v8
	v_cvt_f32_f16_e32 v25, v25
	v_fma_f16 v3, v136, v23, -v3
	v_lshl_or_b32 v20, v20, 9, 0x7c00
	v_cndmask_b32_e64 v13, 0, 1, vcc_lo
	v_cmp_gt_i32_e32 vcc_lo, 1, v24
	global_store_dword v[15:16], v4, off
	v_lshrrev_b32_e32 v14, 16, v14
	v_and_or_b32 v13, 0xffe, v26, v13
	v_cndmask_b32_e32 v28, v18, v17, vcc_lo
	v_cmp_gt_i32_e32 vcc_lo, 31, v22
	v_sub_nc_u32_e32 v26, 0x3f1, v27
	v_cvt_f64_f32_e32 v[17:18], v25
	v_or_b32_e32 v29, 0x1000, v13
	v_and_b32_e32 v25, 7, v28
	v_cndmask_b32_e32 v2, 0x7c00, v2, vcc_lo
	v_cmp_eq_u32_e32 vcc_lo, 0x40f, v22
	v_med3_i32 v26, v26, 0, 13
	v_cmp_eq_u32_e64 s0, 3, v25
	v_cndmask_b32_e32 v2, v2, v20, vcc_lo
	v_lshrrev_b32_e32 v20, 16, v21
	v_lshrrev_b32_e32 v21, v26, v29
	v_cmp_lt_i32_e32 vcc_lo, 5, v25
	v_cvt_f32_f16_e32 v25, v3
	v_and_or_b32 v20, 0x8000, v20, v2
	v_lshrrev_b32_e32 v2, 2, v28
	v_lshlrev_b32_e32 v22, v26, v21
	s_or_b32 vcc_lo, s0, vcc_lo
	v_add_nc_u32_e32 v26, 0xfffffc10, v27
	v_lshl_or_b32 v4, v20, 16, v19
	v_add_co_ci_u32_e32 v23, vcc_lo, 0, v2, vcc_lo
	v_cmp_ne_u32_e32 vcc_lo, v22, v29
	v_mul_f64 v[2:3], v[17:18], s[2:3]
	v_cvt_f64_f32_e32 v[17:18], v25
	v_cndmask_b32_e64 v22, 0, 1, vcc_lo
	v_cmp_ne_u32_e32 vcc_lo, 0, v8
	v_or_b32_e32 v21, v21, v22
	v_cndmask_b32_e64 v8, 0, 1, vcc_lo
	v_cmp_gt_i32_e32 vcc_lo, 31, v24
	v_lshl_or_b32 v22, v26, 12, v13
	v_lshl_or_b32 v8, v8, 9, 0x7c00
	v_cndmask_b32_e32 v23, 0x7c00, v23, vcc_lo
	v_cmp_gt_i32_e32 vcc_lo, 1, v26
	v_cndmask_b32_e32 v21, v22, v21, vcc_lo
	v_cmp_eq_u32_e32 vcc_lo, 0x40f, v24
	v_and_or_b32 v2, 0x1ff, v3, v2
	v_lshrrev_b32_e32 v10, 8, v3
	v_and_b32_e32 v6, 7, v21
	v_cndmask_b32_e32 v8, v23, v8, vcc_lo
	v_cmp_ne_u32_e64 s1, 0, v2
	v_cmp_lt_i32_e32 vcc_lo, 5, v6
	v_and_or_b32 v19, 0x8000, v9, v8
	v_mul_f64 v[8:9], v[17:18], s[2:3]
	v_cmp_eq_u32_e64 s0, 3, v6
	v_lshrrev_b32_e32 v6, 2, v21
	v_cndmask_b32_e64 v2, 0, 1, s1
	v_bfe_u32 v17, v3, 20, 11
	v_lshrrev_b32_e32 v18, 16, v12
	s_or_b32 vcc_lo, s0, vcc_lo
	v_and_b32_e32 v19, 0xffff, v19
	v_add_co_ci_u32_e32 v6, vcc_lo, 0, v6, vcc_lo
	v_and_or_b32 v2, 0xffe, v10, v2
	v_sub_nc_u32_e32 v10, 0x3f1, v17
	v_cmp_ne_u32_e32 vcc_lo, 0, v13
	v_mul_f16_sdwa v20, v135, v18 dst_sel:DWORD dst_unused:UNUSED_PAD src0_sel:WORD_1 src1_sel:DWORD
	v_or_b32_e32 v13, 0x1000, v2
	v_med3_i32 v10, v10, 0, 13
	v_cndmask_b32_e64 v11, 0, 1, vcc_lo
	v_cmp_gt_i32_e32 vcc_lo, 31, v26
	v_fmac_f16_e32 v20, v135, v12
	v_mul_f16_sdwa v12, v135, v12 dst_sel:DWORD dst_unused:UNUSED_PAD src0_sel:WORD_1 src1_sel:DWORD
	v_lshrrev_b32_e32 v21, v10, v13
	v_lshl_or_b32 v11, v11, 9, 0x7c00
	v_cndmask_b32_e32 v6, 0x7c00, v6, vcc_lo
	v_and_or_b32 v8, 0x1ff, v9, v8
	v_cmp_eq_u32_e32 vcc_lo, 0x40f, v26
	v_lshlrev_b32_e32 v22, v10, v21
	v_cvt_f32_f16_e32 v10, v20
	v_lshrrev_b32_e32 v20, 8, v9
	v_bfe_u32 v23, v9, 20, 11
	v_cndmask_b32_e32 v6, v6, v11, vcc_lo
	v_cmp_ne_u32_e32 vcc_lo, 0, v8
	v_cvt_f64_f32_e32 v[10:11], v10
	v_fma_f16 v12, v135, v18, -v12
	v_lshrrev_b32_e32 v9, 16, v9
	v_and_or_b32 v6, 0x8000, v14, v6
	v_cndmask_b32_e64 v8, 0, 1, vcc_lo
	v_cmp_ne_u32_e32 vcc_lo, v22, v13
	v_add_nc_u32_e32 v22, 0xfffffc10, v17
	v_sub_nc_u32_e32 v17, 0x3f1, v23
	v_lshl_or_b32 v6, v6, 16, v19
	v_and_or_b32 v8, 0xffe, v20, v8
	v_cndmask_b32_e64 v13, 0, 1, vcc_lo
	v_lshl_or_b32 v20, v22, 12, v2
	v_med3_i32 v17, v17, 0, 13
	v_cmp_gt_i32_e32 vcc_lo, 1, v22
	v_cvt_f32_f16_e32 v12, v12
	v_or_b32_e32 v13, v21, v13
	v_or_b32_e32 v21, 0x1000, v8
	v_cndmask_b32_e32 v20, v20, v13, vcc_lo
	v_lshrrev_b32_e32 v24, v17, v21
	v_add_co_u32 v13, vcc_lo, v15, s7
	v_add_co_ci_u32_e32 v14, vcc_lo, s6, v16, vcc_lo
	v_lshlrev_b32_e32 v17, v17, v24
	v_and_b32_e32 v19, 7, v20
	v_mul_f64 v[10:11], v[10:11], s[2:3]
	v_add_co_u32 v15, vcc_lo, v13, s7
	v_cmp_ne_u32_e64 s0, v17, v21
	v_add_co_ci_u32_e32 v16, vcc_lo, s6, v14, vcc_lo
	v_cmp_lt_i32_e32 vcc_lo, 5, v19
	v_add_nc_u32_e32 v21, 0xfffffc10, v23
	v_cndmask_b32_e64 v17, 0, 1, s0
	v_cmp_eq_u32_e64 s0, 3, v19
	v_lshrrev_b32_e32 v19, 2, v20
	global_store_dword v[13:14], v4, off
	global_store_dword v[15:16], v6, off
	v_lshl_or_b32 v23, v21, 12, v8
	v_or_b32_e32 v20, v24, v17
	s_or_b32 vcc_lo, s0, vcc_lo
	v_cvt_f64_f32_e32 v[17:18], v12
	v_add_co_ci_u32_e32 v12, vcc_lo, 0, v19, vcc_lo
	v_cmp_ne_u32_e32 vcc_lo, 0, v2
	v_and_or_b32 v10, 0x1ff, v11, v10
	v_cndmask_b32_e64 v2, 0, 1, vcc_lo
	v_cmp_gt_i32_e32 vcc_lo, 1, v21
	v_bfe_u32 v24, v11, 20, 11
	v_lshl_or_b32 v2, v2, 9, 0x7c00
	v_cndmask_b32_e32 v19, v23, v20, vcc_lo
	v_cmp_gt_i32_e32 vcc_lo, 31, v22
	v_lshrrev_b32_e32 v23, 8, v11
	v_and_b32_e32 v20, 7, v19
	v_cndmask_b32_e32 v12, 0x7c00, v12, vcc_lo
	v_cmp_ne_u32_e32 vcc_lo, 0, v10
	v_cmp_eq_u32_e64 s0, 3, v20
	v_cndmask_b32_e64 v10, 0, 1, vcc_lo
	v_cmp_eq_u32_e32 vcc_lo, 0x40f, v22
	v_lshrrev_b32_e32 v22, 16, v3
	v_and_or_b32 v10, 0xffe, v23, v10
	v_cndmask_b32_e32 v12, v12, v2, vcc_lo
	v_cmp_lt_i32_e32 vcc_lo, 5, v20
	v_mul_f64 v[2:3], v[17:18], s[2:3]
	v_lshrrev_b32_e32 v17, 2, v19
	v_sub_nc_u32_e32 v23, 0x3f1, v24
	v_or_b32_e32 v18, 0x1000, v10
	s_or_b32 vcc_lo, s0, vcc_lo
	v_lshrrev_b32_e32 v20, 16, v0
	v_add_co_ci_u32_e32 v17, vcc_lo, 0, v17, vcc_lo
	v_med3_i32 v19, v23, 0, 13
	v_cmp_ne_u32_e32 vcc_lo, 0, v8
	v_mul_f16_sdwa v23, v134, v20 dst_sel:DWORD dst_unused:UNUSED_PAD src0_sel:WORD_1 src1_sel:DWORD
	v_and_or_b32 v12, 0x8000, v22, v12
	v_lshrrev_b32_e32 v25, v19, v18
	v_cndmask_b32_e64 v8, 0, 1, vcc_lo
	v_cmp_gt_i32_e32 vcc_lo, 31, v21
	v_fmac_f16_e32 v23, v134, v0
	v_mul_f16_sdwa v0, v134, v0 dst_sel:DWORD dst_unused:UNUSED_PAD src0_sel:WORD_1 src1_sel:DWORD
	v_lshlrev_b32_e32 v19, v19, v25
	v_lshl_or_b32 v8, v8, 9, 0x7c00
	v_cndmask_b32_e32 v17, 0x7c00, v17, vcc_lo
	v_cmp_eq_u32_e32 vcc_lo, 0x40f, v21
	v_and_or_b32 v2, 0x1ff, v3, v2
	v_add_nc_u32_e32 v21, 0xfffffc10, v24
	v_lshrrev_b32_e32 v22, 8, v3
	v_fma_f16 v0, v134, v20, -v0
	v_cndmask_b32_e32 v8, v17, v8, vcc_lo
	v_cmp_ne_u32_e32 vcc_lo, v19, v18
	v_cvt_f32_f16_e32 v17, v23
	v_bfe_u32 v23, v3, 20, 11
	v_lshl_or_b32 v24, v21, 12, v10
	v_and_or_b32 v8, 0x8000, v9, v8
	v_cndmask_b32_e64 v19, 0, 1, vcc_lo
	v_cmp_ne_u32_e32 vcc_lo, 0, v2
	v_cvt_f64_f32_e32 v[17:18], v17
	v_and_b32_e32 v9, 0xffff, v12
	v_cvt_f32_f16_e32 v0, v0
	v_or_b32_e32 v19, v25, v19
	v_cndmask_b32_e64 v2, 0, 1, vcc_lo
	v_cmp_gt_i32_e32 vcc_lo, 1, v21
	v_lshl_or_b32 v4, v8, 16, v9
	v_lshrrev_b32_e32 v20, 16, v7
	v_lshrrev_b32_e32 v3, 16, v3
	v_and_or_b32 v2, 0xffe, v22, v2
	v_sub_nc_u32_e32 v22, 0x3f1, v23
	v_cndmask_b32_e32 v19, v24, v19, vcc_lo
	v_or_b32_e32 v12, 0x1000, v2
	v_med3_i32 v22, v22, 0, 13
	v_and_b32_e32 v24, 7, v19
	v_lshrrev_b32_e32 v13, 2, v19
	v_lshrrev_b32_e32 v6, v22, v12
	v_cmp_lt_i32_e32 vcc_lo, 5, v24
	v_cmp_eq_u32_e64 s0, 3, v24
	v_mul_f64 v[8:9], v[17:18], s[2:3]
	v_add_nc_u32_e32 v17, 0xfffffc10, v23
	v_lshlrev_b32_e32 v14, v22, v6
	s_or_b32 vcc_lo, s0, vcc_lo
	v_add_co_ci_u32_e32 v13, vcc_lo, 0, v13, vcc_lo
	v_cmp_ne_u32_e32 vcc_lo, v14, v12
	v_cndmask_b32_e64 v12, 0, 1, vcc_lo
	v_cmp_ne_u32_e32 vcc_lo, 0, v10
	v_or_b32_e32 v6, v6, v12
	v_cndmask_b32_e64 v10, 0, 1, vcc_lo
	v_cmp_gt_i32_e32 vcc_lo, 31, v21
	v_lshl_or_b32 v12, v17, 12, v2
	v_bfe_u32 v19, v9, 20, 11
	v_lshl_or_b32 v10, v10, 9, 0x7c00
	v_cndmask_b32_e32 v18, 0x7c00, v13, vcc_lo
	v_cmp_gt_i32_e32 vcc_lo, 1, v17
	v_cndmask_b32_e32 v6, v12, v6, vcc_lo
	v_cvt_f64_f32_e32 v[12:13], v0
	v_add_co_u32 v14, vcc_lo, v15, s9
	v_add_co_ci_u32_e32 v15, vcc_lo, s8, v16, vcc_lo
	v_and_or_b32 v0, 0x1ff, v9, v8
	v_cmp_eq_u32_e32 vcc_lo, 0x40f, v21
	v_lshrrev_b32_e32 v16, 8, v9
	v_mul_f16_sdwa v21, v133, v20 dst_sel:DWORD dst_unused:UNUSED_PAD src0_sel:WORD_1 src1_sel:DWORD
	global_store_dword v[14:15], v4, off
	v_cndmask_b32_e32 v8, v18, v10, vcc_lo
	v_cmp_ne_u32_e32 vcc_lo, 0, v0
	v_and_b32_e32 v10, 7, v6
	v_lshrrev_b32_e32 v18, 16, v11
	v_lshrrev_b32_e32 v6, 2, v6
	v_fmac_f16_e32 v21, v133, v7
	v_cndmask_b32_e64 v0, 0, 1, vcc_lo
	v_cmp_lt_i32_e32 vcc_lo, 5, v10
	v_cmp_eq_u32_e64 s0, 3, v10
	v_and_or_b32 v8, 0x8000, v18, v8
	v_mul_f16_sdwa v7, v133, v7 dst_sel:DWORD dst_unused:UNUSED_PAD src0_sel:WORD_1 src1_sel:DWORD
	v_mul_f64 v[10:11], v[12:13], s[2:3]
	v_and_or_b32 v0, 0xffe, v16, v0
	v_sub_nc_u32_e32 v16, 0x3f1, v19
	s_or_b32 vcc_lo, s0, vcc_lo
	v_cvt_f32_f16_e32 v13, v21
	v_add_co_ci_u32_e32 v6, vcc_lo, 0, v6, vcc_lo
	v_or_b32_e32 v22, 0x1000, v0
	v_med3_i32 v12, v16, 0, 13
	v_cmp_ne_u32_e32 vcc_lo, 0, v2
	v_fma_f16 v7, v133, v20, -v7
	v_lshrrev_b32_e32 v16, v12, v22
	v_cndmask_b32_e64 v2, 0, 1, vcc_lo
	v_cmp_gt_i32_e32 vcc_lo, 31, v17
	v_cvt_f32_f16_e32 v7, v7
	v_lshlrev_b32_e32 v18, v12, v16
	v_lshl_or_b32 v2, v2, 9, 0x7c00
	v_cndmask_b32_e32 v6, 0x7c00, v6, vcc_lo
	v_cmp_eq_u32_e32 vcc_lo, 0x40f, v17
	v_cvt_f64_f32_e32 v[12:13], v13
	v_and_or_b32 v10, 0x1ff, v11, v10
	v_add_nc_u32_e32 v17, 0xfffffc10, v19
	v_cndmask_b32_e32 v2, v6, v2, vcc_lo
	v_cmp_ne_u32_e32 vcc_lo, v18, v22
	v_bfe_u32 v18, v11, 20, 11
	v_and_or_b32 v2, 0x8000, v3, v2
	v_cndmask_b32_e64 v6, 0, 1, vcc_lo
	v_cmp_ne_u32_e32 vcc_lo, 0, v10
	v_and_b32_e32 v3, 0xffff, v8
	v_lshl_or_b32 v8, v17, 12, v0
	v_or_b32_e32 v6, v16, v6
	v_cndmask_b32_e64 v10, 0, 1, vcc_lo
	v_lshrrev_b32_e32 v16, 8, v11
	v_cmp_gt_i32_e32 vcc_lo, 1, v17
	v_lshrrev_b32_e32 v11, 16, v11
	v_and_or_b32 v4, 0xffe, v16, v10
	v_cndmask_b32_e32 v6, v8, v6, vcc_lo
	v_sub_nc_u32_e32 v8, 0x3f1, v18
	v_lshl_or_b32 v10, v2, 16, v3
	v_mul_f64 v[2:3], v[12:13], s[2:3]
	v_or_b32_e32 v19, 0x1000, v4
	v_and_b32_e32 v16, 7, v6
	v_med3_i32 v8, v8, 0, 13
	v_add_co_u32 v12, vcc_lo, v14, s7
	v_add_co_ci_u32_e32 v13, vcc_lo, s6, v15, vcc_lo
	v_lshrrev_b32_e32 v14, v8, v19
	v_cmp_lt_i32_e32 vcc_lo, 5, v16
	v_cmp_eq_u32_e64 s0, 3, v16
	v_lshrrev_b32_e32 v6, 2, v6
	global_store_dword v[12:13], v10, off
	v_lshlrev_b32_e32 v8, v8, v14
	v_add_nc_u32_e32 v10, 0xfffffc10, v18
	s_or_b32 vcc_lo, s0, vcc_lo
	v_add_co_ci_u32_e32 v6, vcc_lo, 0, v6, vcc_lo
	v_cmp_ne_u32_e32 vcc_lo, v8, v19
	v_and_or_b32 v2, 0x1ff, v3, v2
	v_lshrrev_b32_e32 v16, 8, v3
	v_cndmask_b32_e64 v8, 0, 1, vcc_lo
	v_cmp_gt_i32_e32 vcc_lo, 31, v17
	v_bfe_u32 v18, v3, 20, 11
	v_or_b32_e32 v8, v14, v8
	v_cndmask_b32_e32 v15, 0x7c00, v6, vcc_lo
	v_cmp_ne_u32_e32 vcc_lo, 0, v2
	v_cvt_f64_f32_e32 v[6:7], v7
	v_lshl_or_b32 v14, v10, 12, v4
	v_cndmask_b32_e64 v2, 0, 1, vcc_lo
	v_cmp_ne_u32_e32 vcc_lo, 0, v0
	v_and_or_b32 v2, 0xffe, v16, v2
	v_cndmask_b32_e64 v0, 0, 1, vcc_lo
	v_cmp_gt_i32_e32 vcc_lo, 1, v10
	v_lshrrev_b32_e32 v16, 16, v1
	v_or_b32_e32 v20, 0x1000, v2
	v_lshl_or_b32 v0, v0, 9, 0x7c00
	v_cndmask_b32_e32 v8, v14, v8, vcc_lo
	v_sub_nc_u32_e32 v14, 0x3f1, v18
	v_cmp_eq_u32_e32 vcc_lo, 0x40f, v17
	v_mul_f16_sdwa v21, v132, v16 dst_sel:DWORD dst_unused:UNUSED_PAD src0_sel:WORD_1 src1_sel:DWORD
	v_lshrrev_b32_e32 v17, 16, v9
	v_and_b32_e32 v19, 7, v8
	v_med3_i32 v14, v14, 0, 13
	v_cndmask_b32_e32 v0, v15, v0, vcc_lo
	v_lshrrev_b32_e32 v8, 2, v8
	v_mul_f64 v[6:7], v[6:7], s[2:3]
	v_cmp_lt_i32_e32 vcc_lo, 5, v19
	v_cmp_eq_u32_e64 s0, 3, v19
	v_lshrrev_b32_e32 v15, v14, v20
	v_fmac_f16_e32 v21, v132, v1
	v_add_nc_u32_e32 v18, 0xfffffc10, v18
	v_and_or_b32 v0, 0x8000, v17, v0
	s_or_b32 vcc_lo, s0, vcc_lo
	v_lshlrev_b32_e32 v14, v14, v15
	v_add_co_ci_u32_e32 v19, vcc_lo, 0, v8, vcc_lo
	v_cmp_ne_u32_e32 vcc_lo, 0, v4
	v_cvt_f32_f16_e32 v9, v21
	v_mul_f16_sdwa v1, v132, v1 dst_sel:DWORD dst_unused:UNUSED_PAD src0_sel:WORD_1 src1_sel:DWORD
	v_and_b32_e32 v0, 0xffff, v0
	v_lshrrev_b32_e32 v21, 16, v5
	v_cndmask_b32_e64 v4, 0, 1, vcc_lo
	v_cmp_ne_u32_e32 vcc_lo, v14, v20
	v_cvt_f64_f32_e32 v[8:9], v9
	v_fma_f16 v1, v132, v16, -v1
	v_lshl_or_b32 v4, v4, 9, 0x7c00
	v_cndmask_b32_e64 v14, 0, 1, vcc_lo
	v_cmp_gt_i32_e32 vcc_lo, 31, v10
	v_and_or_b32 v6, 0x1ff, v7, v6
	v_cvt_f32_f16_e32 v1, v1
	v_or_b32_e32 v14, v15, v14
	v_cndmask_b32_e32 v19, 0x7c00, v19, vcc_lo
	v_cmp_eq_u32_e32 vcc_lo, 0x40f, v10
	v_lshl_or_b32 v15, v18, 12, v2
	v_cndmask_b32_e32 v4, v19, v4, vcc_lo
	v_cmp_gt_i32_e32 vcc_lo, 1, v18
	v_and_or_b32 v4, 0x8000, v11, v4
	v_cndmask_b32_e32 v10, v15, v14, vcc_lo
	v_cmp_ne_u32_e32 vcc_lo, 0, v6
	v_lshrrev_b32_e32 v14, 8, v7
	v_bfe_u32 v15, v7, 20, 11
	v_mul_f64 v[8:9], v[8:9], s[2:3]
	v_and_b32_e32 v19, 7, v10
	v_cndmask_b32_e64 v6, 0, 1, vcc_lo
	v_lshrrev_b32_e32 v10, 2, v10
	v_lshl_or_b32 v16, v4, 16, v0
	v_cmp_lt_i32_e32 vcc_lo, 5, v19
	v_and_or_b32 v6, 0xffe, v14, v6
	v_sub_nc_u32_e32 v14, 0x3f1, v15
	v_cmp_eq_u32_e64 s0, 3, v19
	v_or_b32_e32 v11, 0x1000, v6
	v_med3_i32 v14, v14, 0, 13
	s_or_b32 vcc_lo, s0, vcc_lo
	v_add_co_ci_u32_e32 v10, vcc_lo, 0, v10, vcc_lo
	v_lshrrev_b32_e32 v17, v14, v11
	v_cmp_gt_i32_e32 vcc_lo, 31, v18
	v_and_or_b32 v8, 0x1ff, v9, v8
	v_lshlrev_b32_e32 v0, v14, v17
	v_cndmask_b32_e32 v4, 0x7c00, v10, vcc_lo
	v_add_nc_u32_e32 v14, 0xfffffc10, v15
	v_bfe_u32 v15, v9, 20, 11
	v_cmp_ne_u32_e32 vcc_lo, v0, v11
	v_cvt_f64_f32_e32 v[0:1], v1
	v_lshrrev_b32_e32 v11, 8, v9
	v_cndmask_b32_e64 v10, 0, 1, vcc_lo
	v_cmp_ne_u32_e32 vcc_lo, 0, v8
	v_or_b32_e32 v10, v17, v10
	v_cndmask_b32_e64 v8, 0, 1, vcc_lo
	v_cmp_ne_u32_e32 vcc_lo, 0, v2
	v_lshl_or_b32 v17, v14, 12, v6
	v_and_or_b32 v8, 0xffe, v11, v8
	v_cndmask_b32_e64 v2, 0, 1, vcc_lo
	v_sub_nc_u32_e32 v11, 0x3f1, v15
	v_cmp_gt_i32_e32 vcc_lo, 1, v14
	v_lshl_or_b32 v2, v2, 9, 0x7c00
	v_med3_i32 v11, v11, 0, 13
	v_cndmask_b32_e32 v10, v17, v10, vcc_lo
	v_or_b32_e32 v17, 0x1000, v8
	v_mul_f64 v[0:1], v[0:1], s[2:3]
	v_cmp_eq_u32_e32 vcc_lo, 0x40f, v18
	v_lshrrev_b32_e32 v18, 16, v3
	v_and_b32_e32 v19, 7, v10
	v_lshrrev_b32_e32 v20, v11, v17
	v_lshrrev_b32_e32 v10, 2, v10
	v_cndmask_b32_e32 v4, v4, v2, vcc_lo
	v_add_co_u32 v2, vcc_lo, v12, s7
	v_mul_f16_sdwa v12, v131, v21 dst_sel:DWORD dst_unused:UNUSED_PAD src0_sel:WORD_1 src1_sel:DWORD
	v_lshlrev_b32_e32 v11, v11, v20
	v_add_co_ci_u32_e32 v3, vcc_lo, s6, v13, vcc_lo
	v_cmp_lt_i32_e32 vcc_lo, 5, v19
	v_cmp_eq_u32_e64 s0, 3, v19
	v_fmac_f16_e32 v12, v131, v5
	v_cmp_ne_u32_e64 s1, v11, v17
	v_add_nc_u32_e32 v13, 0xfffffc10, v15
	v_and_or_b32 v4, 0x8000, v18, v4
	s_or_b32 vcc_lo, s0, vcc_lo
	v_cvt_f32_f16_e32 v12, v12
	v_add_co_ci_u32_e32 v15, vcc_lo, 0, v10, vcc_lo
	v_cndmask_b32_e64 v11, 0, 1, s1
	v_cmp_ne_u32_e32 vcc_lo, 0, v6
	v_and_or_b32 v0, 0x1ff, v1, v0
	v_bfe_u32 v18, v1, 20, 11
	v_and_b32_e32 v4, 0xffff, v4
	v_or_b32_e32 v17, v20, v11
	v_cvt_f64_f32_e32 v[10:11], v12
	v_lshl_or_b32 v12, v13, 12, v8
	v_cndmask_b32_e64 v6, 0, 1, vcc_lo
	v_cmp_gt_i32_e32 vcc_lo, 1, v13
	v_mul_f16_sdwa v5, v131, v5 dst_sel:DWORD dst_unused:UNUSED_PAD src0_sel:WORD_1 src1_sel:DWORD
	v_lshl_or_b32 v6, v6, 9, 0x7c00
	v_cndmask_b32_e32 v12, v12, v17, vcc_lo
	v_cmp_ne_u32_e32 vcc_lo, 0, v0
	v_lshrrev_b32_e32 v17, 8, v1
	v_fma_f16 v5, v131, v21, -v5
	v_and_b32_e32 v19, 7, v12
	v_cndmask_b32_e64 v0, 0, 1, vcc_lo
	v_cmp_gt_i32_e32 vcc_lo, 31, v14
	v_lshrrev_b32_e32 v12, 2, v12
	v_cmp_eq_u32_e64 s0, 3, v19
	v_and_or_b32 v0, 0xffe, v17, v0
	v_cndmask_b32_e32 v15, 0x7c00, v15, vcc_lo
	v_cmp_eq_u32_e32 vcc_lo, 0x40f, v14
	v_lshrrev_b32_e32 v17, 16, v7
	v_or_b32_e32 v20, 0x1000, v0
	v_cndmask_b32_e32 v14, v15, v6, vcc_lo
	v_sub_nc_u32_e32 v15, 0x3f1, v18
	v_cmp_lt_i32_e32 vcc_lo, 5, v19
	v_mul_f64 v[6:7], v[10:11], s[2:3]
	v_and_or_b32 v11, 0x8000, v17, v14
	v_med3_i32 v10, v15, 0, 13
	s_or_b32 vcc_lo, s0, vcc_lo
	v_add_nc_u32_e32 v17, 0xfffffc10, v18
	v_add_co_ci_u32_e32 v12, vcc_lo, 0, v12, vcc_lo
	v_lshrrev_b32_e32 v14, v10, v20
	v_cmp_ne_u32_e32 vcc_lo, 0, v8
	v_lshl_or_b32 v15, v11, 16, v4
	v_lshl_or_b32 v11, v17, 12, v0
	v_lshrrev_b32_e32 v18, 16, v9
	v_lshlrev_b32_e32 v4, v10, v14
	v_cndmask_b32_e64 v8, 0, 1, vcc_lo
	v_cmp_gt_i32_e32 vcc_lo, 31, v13
	v_lshl_or_b32 v8, v8, 9, 0x7c00
	v_cndmask_b32_e32 v10, 0x7c00, v12, vcc_lo
	v_cmp_ne_u32_e32 vcc_lo, v4, v20
	ds_read_b32 v12, v129 offset:2312
	v_and_or_b32 v6, 0x1ff, v7, v6
	v_cndmask_b32_e64 v4, 0, 1, vcc_lo
	v_cmp_eq_u32_e32 vcc_lo, 0x40f, v13
	v_lshrrev_b32_e32 v13, 8, v7
	v_cndmask_b32_e32 v10, v10, v8, vcc_lo
	v_cmp_ne_u32_e32 vcc_lo, 0, v6
	v_or_b32_e32 v8, v14, v4
	v_cvt_f32_f16_e32 v4, v5
	v_bfe_u32 v14, v7, 20, 11
	v_and_or_b32 v18, 0x8000, v18, v10
	v_cndmask_b32_e64 v6, 0, 1, vcc_lo
	v_cmp_gt_i32_e32 vcc_lo, 1, v17
	v_cvt_f64_f32_e32 v[4:5], v4
	v_lshrrev_b32_e32 v7, 16, v7
	v_and_or_b32 v6, 0xffe, v13, v6
	v_cndmask_b32_e32 v11, v11, v8, vcc_lo
	v_sub_nc_u32_e32 v8, 0x3f1, v14
	s_waitcnt lgkmcnt(0)
	v_lshrrev_b32_e32 v13, 16, v12
	v_add_nc_u32_e32 v14, 0xfffffc10, v14
	v_or_b32_e32 v20, 0x1000, v6
	v_and_b32_e32 v19, 7, v11
	v_med3_i32 v21, v8, 0, 13
	v_mul_f16_sdwa v22, v130, v13 dst_sel:DWORD dst_unused:UNUSED_PAD src0_sel:WORD_1 src1_sel:DWORD
	v_add_co_u32 v8, vcc_lo, v2, s7
	v_add_co_ci_u32_e32 v9, vcc_lo, s6, v3, vcc_lo
	v_lshrrev_b32_e32 v23, v21, v20
	v_fmac_f16_e32 v22, v130, v12
	v_cmp_lt_i32_e32 vcc_lo, 5, v19
	v_cmp_eq_u32_e64 s0, 3, v19
	v_lshrrev_b32_e32 v10, 2, v11
	v_lshlrev_b32_e32 v19, v21, v23
	v_cvt_f32_f16_e32 v11, v22
	v_mul_f64 v[4:5], v[4:5], s[2:3]
	s_or_b32 vcc_lo, s0, vcc_lo
	v_mul_f16_sdwa v12, v130, v12 dst_sel:DWORD dst_unused:UNUSED_PAD src0_sel:WORD_1 src1_sel:DWORD
	v_add_co_ci_u32_e32 v21, vcc_lo, 0, v10, vcc_lo
	v_cmp_ne_u32_e32 vcc_lo, v19, v20
	v_cvt_f64_f32_e32 v[10:11], v11
	v_lshl_or_b32 v20, v14, 12, v6
	v_fma_f16 v12, v130, v13, -v12
	v_cndmask_b32_e64 v19, 0, 1, vcc_lo
	v_cmp_ne_u32_e32 vcc_lo, 0, v0
	v_cvt_f32_f16_e32 v12, v12
	v_or_b32_e32 v19, v23, v19
	v_cndmask_b32_e64 v0, 0, 1, vcc_lo
	v_cmp_gt_i32_e32 vcc_lo, 31, v17
	v_lshl_or_b32 v0, v0, 9, 0x7c00
	v_cndmask_b32_e32 v13, 0x7c00, v21, vcc_lo
	v_cmp_gt_i32_e32 vcc_lo, 1, v14
	v_and_or_b32 v4, 0x1ff, v5, v4
	v_bfe_u32 v21, v5, 20, 11
	v_cndmask_b32_e32 v19, v20, v19, vcc_lo
	v_cmp_eq_u32_e32 vcc_lo, 0x40f, v17
	v_mul_f64 v[10:11], v[10:11], s[2:3]
	v_lshrrev_b32_e32 v17, 16, v1
	v_lshrrev_b32_e32 v20, 8, v5
	;; [unrolled: 1-line block ×3, first 2 shown]
	v_cndmask_b32_e32 v13, v13, v0, vcc_lo
	v_cvt_f64_f32_e32 v[0:1], v12
	v_cmp_ne_u32_e32 vcc_lo, 0, v4
	v_and_b32_e32 v12, 7, v19
	v_and_or_b32 v13, 0x8000, v17, v13
	v_and_b32_e32 v17, 0xffff, v18
	v_cndmask_b32_e64 v4, 0, 1, vcc_lo
	v_cmp_lt_i32_e32 vcc_lo, 5, v12
	v_cmp_eq_u32_e64 s0, 3, v12
	v_sub_nc_u32_e32 v18, 0x3f1, v21
	v_lshl_or_b32 v12, v13, 16, v17
	v_lshrrev_b32_e32 v13, 2, v19
	v_and_or_b32 v4, 0xffe, v20, v4
	s_or_b32 vcc_lo, s0, vcc_lo
	v_med3_i32 v18, v18, 0, 13
	v_add_co_ci_u32_e32 v13, vcc_lo, 0, v13, vcc_lo
	v_or_b32_e32 v17, 0x1000, v4
	v_cmp_ne_u32_e32 vcc_lo, 0, v6
	v_and_or_b32 v10, 0x1ff, v11, v10
	v_lshrrev_b32_e32 v20, 8, v11
	v_mul_f64 v[0:1], v[0:1], s[2:3]
	v_lshrrev_b32_e32 v19, v18, v17
	v_cndmask_b32_e64 v6, 0, 1, vcc_lo
	v_cmp_gt_i32_e32 vcc_lo, 31, v14
	v_bfe_u32 v22, v11, 20, 11
	v_lshrrev_b32_e32 v11, 16, v11
	v_lshlrev_b32_e32 v18, v18, v19
	v_lshl_or_b32 v6, v6, 9, 0x7c00
	v_cndmask_b32_e32 v13, 0x7c00, v13, vcc_lo
	v_cmp_ne_u32_e32 vcc_lo, 0, v10
	v_cndmask_b32_e64 v10, 0, 1, vcc_lo
	v_cmp_ne_u32_e32 vcc_lo, v18, v17
	v_add_nc_u32_e32 v18, 0xfffffc10, v21
	v_and_or_b32 v10, 0xffe, v20, v10
	v_cndmask_b32_e64 v17, 0, 1, vcc_lo
	v_sub_nc_u32_e32 v20, 0x3f1, v22
	v_cmp_eq_u32_e32 vcc_lo, 0x40f, v14
	v_lshl_or_b32 v14, v18, 12, v4
	v_and_or_b32 v0, 0x1ff, v1, v0
	v_bfe_u32 v21, v1, 20, 11
	v_cndmask_b32_e32 v6, v13, v6, vcc_lo
	v_or_b32_e32 v13, v19, v17
	v_or_b32_e32 v17, 0x1000, v10
	v_med3_i32 v19, v20, 0, 13
	v_cmp_gt_i32_e32 vcc_lo, 1, v18
	v_lshrrev_b32_e32 v20, 8, v1
	v_and_or_b32 v6, 0x8000, v7, v6
	v_sub_nc_u32_e32 v7, 0x3f1, v21
	v_cndmask_b32_e32 v13, v14, v13, vcc_lo
	v_lshrrev_b32_e32 v14, v19, v17
	v_cmp_ne_u32_e32 vcc_lo, 0, v0
	v_med3_i32 v7, v7, 0, 13
	v_and_b32_e32 v23, 7, v13
	v_lshlrev_b32_e32 v19, v19, v14
	v_cndmask_b32_e64 v0, 0, 1, vcc_lo
	v_lshrrev_b32_e32 v13, 2, v13
	v_cmp_lt_i32_e32 vcc_lo, 5, v23
	v_cmp_ne_u32_e64 s0, v19, v17
	v_and_or_b32 v0, 0xffe, v20, v0
	v_add_nc_u32_e32 v20, 0xfffffc10, v22
	v_cndmask_b32_e64 v17, 0, 1, s0
	v_cmp_eq_u32_e64 s0, 3, v23
	v_or_b32_e32 v19, 0x1000, v0
	v_lshl_or_b32 v22, v20, 12, v10
	v_or_b32_e32 v14, v14, v17
	s_or_b32 vcc_lo, s0, vcc_lo
	v_lshrrev_b32_e32 v17, v7, v19
	v_add_co_ci_u32_e32 v13, vcc_lo, 0, v13, vcc_lo
	v_cmp_gt_i32_e32 vcc_lo, 1, v20
	v_lshlrev_b32_e32 v7, v7, v17
	v_cndmask_b32_e32 v14, v22, v14, vcc_lo
	v_cmp_ne_u32_e32 vcc_lo, 0, v4
	v_cndmask_b32_e64 v4, 0, 1, vcc_lo
	v_cmp_ne_u32_e32 vcc_lo, v7, v19
	v_add_nc_u32_e32 v19, 0xfffffc10, v21
	v_and_b32_e32 v21, 7, v14
	v_lshl_or_b32 v4, v4, 9, 0x7c00
	v_cndmask_b32_e64 v7, 0, 1, vcc_lo
	v_cmp_gt_i32_e32 vcc_lo, 31, v18
	v_cmp_gt_i32_e64 s1, 1, v19
	v_cmp_eq_u32_e64 s0, 3, v21
	v_or_b32_e32 v7, v17, v7
	v_lshl_or_b32 v17, v19, 12, v0
	v_cndmask_b32_e32 v13, 0x7c00, v13, vcc_lo
	v_cmp_lt_i32_e32 vcc_lo, 5, v21
	v_cndmask_b32_e64 v7, v17, v7, s1
	v_cmp_eq_u32_e64 s1, 0x40f, v18
	s_or_b32 vcc_lo, s0, vcc_lo
	v_cndmask_b32_e64 v4, v13, v4, s1
	v_lshrrev_b32_e32 v13, 2, v14
	v_and_b32_e32 v14, 7, v7
	v_lshrrev_b32_e32 v7, 2, v7
	v_cmp_gt_i32_e64 s1, 31, v20
	v_and_or_b32 v4, 0x8000, v5, v4
	v_add_co_ci_u32_e32 v13, vcc_lo, 0, v13, vcc_lo
	v_cmp_ne_u32_e32 vcc_lo, 0, v10
	v_cmp_eq_u32_e64 s0, 3, v14
	v_and_b32_e32 v5, 0xffff, v6
	v_cndmask_b32_e64 v13, 0x7c00, v13, s1
	v_cndmask_b32_e64 v10, 0, 1, vcc_lo
	v_cmp_lt_i32_e32 vcc_lo, 5, v14
	v_lshl_or_b32 v10, v10, 9, 0x7c00
	s_or_b32 vcc_lo, s0, vcc_lo
	v_add_co_ci_u32_e32 v7, vcc_lo, 0, v7, vcc_lo
	v_cmp_ne_u32_e32 vcc_lo, 0, v0
	v_cndmask_b32_e64 v0, 0, 1, vcc_lo
	v_cmp_eq_u32_e32 vcc_lo, 0x40f, v20
	v_lshl_or_b32 v0, v0, 9, 0x7c00
	v_cndmask_b32_e32 v10, v13, v10, vcc_lo
	v_cmp_gt_i32_e32 vcc_lo, 31, v19
	v_and_or_b32 v6, 0x8000, v11, v10
	v_cndmask_b32_e32 v7, 0x7c00, v7, vcc_lo
	v_cmp_eq_u32_e32 vcc_lo, 0x40f, v19
	v_lshrrev_b32_e32 v10, 16, v1
	v_lshl_or_b32 v11, v4, 16, v5
	v_and_b32_e32 v6, 0xffff, v6
	v_cndmask_b32_e32 v7, v7, v0, vcc_lo
	v_add_co_u32 v0, vcc_lo, v8, s7
	v_add_co_ci_u32_e32 v1, vcc_lo, s6, v9, vcc_lo
	v_and_or_b32 v7, 0x8000, v10, v7
	v_add_co_u32 v4, vcc_lo, v0, s7
	v_add_co_ci_u32_e32 v5, vcc_lo, s6, v1, vcc_lo
	v_lshl_or_b32 v10, v7, 16, v6
	v_add_co_u32 v6, vcc_lo, v4, s7
	v_add_co_ci_u32_e32 v7, vcc_lo, s6, v5, vcc_lo
	global_store_dword v[2:3], v16, off
	global_store_dword v[8:9], v15, off
	;; [unrolled: 1-line block ×5, first 2 shown]
.LBB0_10:
	s_endpgm
	.section	.rodata,"a",@progbits
	.p2align	6, 0x0
	.amdhsa_kernel bluestein_single_fwd_len595_dim1_half_op_CI_CI
		.amdhsa_group_segment_fixed_size 7140
		.amdhsa_private_segment_fixed_size 48
		.amdhsa_kernarg_size 104
		.amdhsa_user_sgpr_count 6
		.amdhsa_user_sgpr_private_segment_buffer 1
		.amdhsa_user_sgpr_dispatch_ptr 0
		.amdhsa_user_sgpr_queue_ptr 0
		.amdhsa_user_sgpr_kernarg_segment_ptr 1
		.amdhsa_user_sgpr_dispatch_id 0
		.amdhsa_user_sgpr_flat_scratch_init 0
		.amdhsa_user_sgpr_private_segment_size 0
		.amdhsa_wavefront_size32 1
		.amdhsa_uses_dynamic_stack 0
		.amdhsa_system_sgpr_private_segment_wavefront_offset 1
		.amdhsa_system_sgpr_workgroup_id_x 1
		.amdhsa_system_sgpr_workgroup_id_y 0
		.amdhsa_system_sgpr_workgroup_id_z 0
		.amdhsa_system_sgpr_workgroup_info 0
		.amdhsa_system_vgpr_workitem_id 0
		.amdhsa_next_free_vgpr 256
		.amdhsa_next_free_sgpr 24
		.amdhsa_reserve_vcc 1
		.amdhsa_reserve_flat_scratch 0
		.amdhsa_float_round_mode_32 0
		.amdhsa_float_round_mode_16_64 0
		.amdhsa_float_denorm_mode_32 3
		.amdhsa_float_denorm_mode_16_64 3
		.amdhsa_dx10_clamp 1
		.amdhsa_ieee_mode 1
		.amdhsa_fp16_overflow 0
		.amdhsa_workgroup_processor_mode 1
		.amdhsa_memory_ordered 1
		.amdhsa_forward_progress 0
		.amdhsa_shared_vgpr_count 0
		.amdhsa_exception_fp_ieee_invalid_op 0
		.amdhsa_exception_fp_denorm_src 0
		.amdhsa_exception_fp_ieee_div_zero 0
		.amdhsa_exception_fp_ieee_overflow 0
		.amdhsa_exception_fp_ieee_underflow 0
		.amdhsa_exception_fp_ieee_inexact 0
		.amdhsa_exception_int_div_zero 0
	.end_amdhsa_kernel
	.text
.Lfunc_end0:
	.size	bluestein_single_fwd_len595_dim1_half_op_CI_CI, .Lfunc_end0-bluestein_single_fwd_len595_dim1_half_op_CI_CI
                                        ; -- End function
	.section	.AMDGPU.csdata,"",@progbits
; Kernel info:
; codeLenInByte = 72396
; NumSgprs: 26
; NumVgprs: 256
; ScratchSize: 48
; MemoryBound: 0
; FloatMode: 240
; IeeeMode: 1
; LDSByteSize: 7140 bytes/workgroup (compile time only)
; SGPRBlocks: 3
; VGPRBlocks: 31
; NumSGPRsForWavesPerEU: 26
; NumVGPRsForWavesPerEU: 256
; Occupancy: 4
; WaveLimiterHint : 1
; COMPUTE_PGM_RSRC2:SCRATCH_EN: 1
; COMPUTE_PGM_RSRC2:USER_SGPR: 6
; COMPUTE_PGM_RSRC2:TRAP_HANDLER: 0
; COMPUTE_PGM_RSRC2:TGID_X_EN: 1
; COMPUTE_PGM_RSRC2:TGID_Y_EN: 0
; COMPUTE_PGM_RSRC2:TGID_Z_EN: 0
; COMPUTE_PGM_RSRC2:TIDIG_COMP_CNT: 0
	.text
	.p2alignl 6, 3214868480
	.fill 48, 4, 3214868480
	.type	__hip_cuid_bc93c013cd650c8c,@object ; @__hip_cuid_bc93c013cd650c8c
	.section	.bss,"aw",@nobits
	.globl	__hip_cuid_bc93c013cd650c8c
__hip_cuid_bc93c013cd650c8c:
	.byte	0                               ; 0x0
	.size	__hip_cuid_bc93c013cd650c8c, 1

	.ident	"AMD clang version 19.0.0git (https://github.com/RadeonOpenCompute/llvm-project roc-6.4.0 25133 c7fe45cf4b819c5991fe208aaa96edf142730f1d)"
	.section	".note.GNU-stack","",@progbits
	.addrsig
	.addrsig_sym __hip_cuid_bc93c013cd650c8c
	.amdgpu_metadata
---
amdhsa.kernels:
  - .args:
      - .actual_access:  read_only
        .address_space:  global
        .offset:         0
        .size:           8
        .value_kind:     global_buffer
      - .actual_access:  read_only
        .address_space:  global
        .offset:         8
        .size:           8
        .value_kind:     global_buffer
      - .actual_access:  read_only
        .address_space:  global
        .offset:         16
        .size:           8
        .value_kind:     global_buffer
      - .actual_access:  read_only
        .address_space:  global
        .offset:         24
        .size:           8
        .value_kind:     global_buffer
      - .actual_access:  read_only
        .address_space:  global
        .offset:         32
        .size:           8
        .value_kind:     global_buffer
      - .offset:         40
        .size:           8
        .value_kind:     by_value
      - .address_space:  global
        .offset:         48
        .size:           8
        .value_kind:     global_buffer
      - .address_space:  global
        .offset:         56
        .size:           8
        .value_kind:     global_buffer
      - .address_space:  global
        .offset:         64
        .size:           8
        .value_kind:     global_buffer
      - .address_space:  global
        .offset:         72
        .size:           8
        .value_kind:     global_buffer
      - .offset:         80
        .size:           4
        .value_kind:     by_value
      - .address_space:  global
        .offset:         88
        .size:           8
        .value_kind:     global_buffer
      - .address_space:  global
        .offset:         96
        .size:           8
        .value_kind:     global_buffer
    .group_segment_fixed_size: 7140
    .kernarg_segment_align: 8
    .kernarg_segment_size: 104
    .language:       OpenCL C
    .language_version:
      - 2
      - 0
    .max_flat_workgroup_size: 51
    .name:           bluestein_single_fwd_len595_dim1_half_op_CI_CI
    .private_segment_fixed_size: 48
    .sgpr_count:     26
    .sgpr_spill_count: 0
    .symbol:         bluestein_single_fwd_len595_dim1_half_op_CI_CI.kd
    .uniform_work_group_size: 1
    .uses_dynamic_stack: false
    .vgpr_count:     256
    .vgpr_spill_count: 11
    .wavefront_size: 32
    .workgroup_processor_mode: 1
amdhsa.target:   amdgcn-amd-amdhsa--gfx1030
amdhsa.version:
  - 1
  - 2
...

	.end_amdgpu_metadata
